;; amdgpu-corpus repo=ROCm/rocFFT kind=compiled arch=gfx906 opt=O3
	.text
	.amdgcn_target "amdgcn-amd-amdhsa--gfx906"
	.amdhsa_code_object_version 6
	.protected	fft_rtc_fwd_len1001_factors_13_7_11_wgs_182_tpt_91_halfLds_dp_ip_CI_sbrr_dirReg ; -- Begin function fft_rtc_fwd_len1001_factors_13_7_11_wgs_182_tpt_91_halfLds_dp_ip_CI_sbrr_dirReg
	.globl	fft_rtc_fwd_len1001_factors_13_7_11_wgs_182_tpt_91_halfLds_dp_ip_CI_sbrr_dirReg
	.p2align	8
	.type	fft_rtc_fwd_len1001_factors_13_7_11_wgs_182_tpt_91_halfLds_dp_ip_CI_sbrr_dirReg,@function
fft_rtc_fwd_len1001_factors_13_7_11_wgs_182_tpt_91_halfLds_dp_ip_CI_sbrr_dirReg: ; @fft_rtc_fwd_len1001_factors_13_7_11_wgs_182_tpt_91_halfLds_dp_ip_CI_sbrr_dirReg
; %bb.0:
	s_load_dwordx2 s[2:3], s[4:5], 0x18
	s_load_dwordx4 s[8:11], s[4:5], 0x0
	s_load_dwordx2 s[14:15], s[4:5], 0x50
	v_mul_u32_u24_e32 v1, 0x2d1, v0
	v_lshrrev_b32_e32 v150, 16, v1
	s_waitcnt lgkmcnt(0)
	s_load_dwordx2 s[12:13], s[2:3], 0x0
	v_cmp_lt_u64_e64 s[0:1], s[10:11], 2
	v_mov_b32_e32 v3, 0
	v_mov_b32_e32 v1, 0
	v_lshl_add_u32 v5, s6, 1, v150
	v_mov_b32_e32 v6, v3
	s_and_b64 vcc, exec, s[0:1]
	v_mov_b32_e32 v2, 0
	s_cbranch_vccnz .LBB0_8
; %bb.1:
	s_load_dwordx2 s[0:1], s[4:5], 0x10
	s_add_u32 s6, s2, 8
	s_addc_u32 s7, s3, 0
	v_mov_b32_e32 v1, 0
	v_mov_b32_e32 v2, 0
	s_waitcnt lgkmcnt(0)
	s_add_u32 s16, s0, 8
	s_addc_u32 s17, s1, 0
	s_mov_b64 s[18:19], 1
.LBB0_2:                                ; =>This Inner Loop Header: Depth=1
	s_load_dwordx2 s[20:21], s[16:17], 0x0
                                        ; implicit-def: $vgpr7_vgpr8
	s_waitcnt lgkmcnt(0)
	v_or_b32_e32 v4, s21, v6
	v_cmp_ne_u64_e32 vcc, 0, v[3:4]
	s_and_saveexec_b64 s[0:1], vcc
	s_xor_b64 s[22:23], exec, s[0:1]
	s_cbranch_execz .LBB0_4
; %bb.3:                                ;   in Loop: Header=BB0_2 Depth=1
	v_cvt_f32_u32_e32 v4, s20
	v_cvt_f32_u32_e32 v7, s21
	s_sub_u32 s0, 0, s20
	s_subb_u32 s1, 0, s21
	v_mac_f32_e32 v4, 0x4f800000, v7
	v_rcp_f32_e32 v4, v4
	v_mul_f32_e32 v4, 0x5f7ffffc, v4
	v_mul_f32_e32 v7, 0x2f800000, v4
	v_trunc_f32_e32 v7, v7
	v_mac_f32_e32 v4, 0xcf800000, v7
	v_cvt_u32_f32_e32 v7, v7
	v_cvt_u32_f32_e32 v4, v4
	v_mul_lo_u32 v8, s0, v7
	v_mul_hi_u32 v9, s0, v4
	v_mul_lo_u32 v11, s1, v4
	v_mul_lo_u32 v10, s0, v4
	v_add_u32_e32 v8, v9, v8
	v_add_u32_e32 v8, v8, v11
	v_mul_hi_u32 v9, v4, v10
	v_mul_lo_u32 v11, v4, v8
	v_mul_hi_u32 v13, v4, v8
	v_mul_hi_u32 v12, v7, v10
	v_mul_lo_u32 v10, v7, v10
	v_mul_hi_u32 v14, v7, v8
	v_add_co_u32_e32 v9, vcc, v9, v11
	v_addc_co_u32_e32 v11, vcc, 0, v13, vcc
	v_mul_lo_u32 v8, v7, v8
	v_add_co_u32_e32 v9, vcc, v9, v10
	v_addc_co_u32_e32 v9, vcc, v11, v12, vcc
	v_addc_co_u32_e32 v10, vcc, 0, v14, vcc
	v_add_co_u32_e32 v8, vcc, v9, v8
	v_addc_co_u32_e32 v9, vcc, 0, v10, vcc
	v_add_co_u32_e32 v4, vcc, v4, v8
	v_addc_co_u32_e32 v7, vcc, v7, v9, vcc
	v_mul_lo_u32 v8, s0, v7
	v_mul_hi_u32 v9, s0, v4
	v_mul_lo_u32 v10, s1, v4
	v_mul_lo_u32 v11, s0, v4
	v_add_u32_e32 v8, v9, v8
	v_add_u32_e32 v8, v8, v10
	v_mul_lo_u32 v12, v4, v8
	v_mul_hi_u32 v13, v4, v11
	v_mul_hi_u32 v14, v4, v8
	v_mul_hi_u32 v10, v7, v11
	v_mul_lo_u32 v11, v7, v11
	v_mul_hi_u32 v9, v7, v8
	v_add_co_u32_e32 v12, vcc, v13, v12
	v_addc_co_u32_e32 v13, vcc, 0, v14, vcc
	v_mul_lo_u32 v8, v7, v8
	v_add_co_u32_e32 v11, vcc, v12, v11
	v_addc_co_u32_e32 v10, vcc, v13, v10, vcc
	v_addc_co_u32_e32 v9, vcc, 0, v9, vcc
	v_add_co_u32_e32 v8, vcc, v10, v8
	v_addc_co_u32_e32 v9, vcc, 0, v9, vcc
	v_add_co_u32_e32 v4, vcc, v4, v8
	v_addc_co_u32_e32 v9, vcc, v7, v9, vcc
	v_mad_u64_u32 v[7:8], s[0:1], v5, v9, 0
	v_mul_hi_u32 v10, v5, v4
	v_add_co_u32_e32 v11, vcc, v10, v7
	v_addc_co_u32_e32 v12, vcc, 0, v8, vcc
	v_mad_u64_u32 v[7:8], s[0:1], v6, v4, 0
	v_mad_u64_u32 v[9:10], s[0:1], v6, v9, 0
	v_add_co_u32_e32 v4, vcc, v11, v7
	v_addc_co_u32_e32 v4, vcc, v12, v8, vcc
	v_addc_co_u32_e32 v7, vcc, 0, v10, vcc
	v_add_co_u32_e32 v4, vcc, v4, v9
	v_addc_co_u32_e32 v9, vcc, 0, v7, vcc
	v_mul_lo_u32 v10, s21, v4
	v_mul_lo_u32 v11, s20, v9
	v_mad_u64_u32 v[7:8], s[0:1], s20, v4, 0
	v_add3_u32 v8, v8, v11, v10
	v_sub_u32_e32 v10, v6, v8
	v_mov_b32_e32 v11, s21
	v_sub_co_u32_e32 v7, vcc, v5, v7
	v_subb_co_u32_e64 v10, s[0:1], v10, v11, vcc
	v_subrev_co_u32_e64 v11, s[0:1], s20, v7
	v_subbrev_co_u32_e64 v10, s[0:1], 0, v10, s[0:1]
	v_cmp_le_u32_e64 s[0:1], s21, v10
	v_cndmask_b32_e64 v12, 0, -1, s[0:1]
	v_cmp_le_u32_e64 s[0:1], s20, v11
	v_cndmask_b32_e64 v11, 0, -1, s[0:1]
	v_cmp_eq_u32_e64 s[0:1], s21, v10
	v_cndmask_b32_e64 v10, v12, v11, s[0:1]
	v_add_co_u32_e64 v11, s[0:1], 2, v4
	v_addc_co_u32_e64 v12, s[0:1], 0, v9, s[0:1]
	v_add_co_u32_e64 v13, s[0:1], 1, v4
	v_addc_co_u32_e64 v14, s[0:1], 0, v9, s[0:1]
	v_subb_co_u32_e32 v8, vcc, v6, v8, vcc
	v_cmp_ne_u32_e64 s[0:1], 0, v10
	v_cmp_le_u32_e32 vcc, s21, v8
	v_cndmask_b32_e64 v10, v14, v12, s[0:1]
	v_cndmask_b32_e64 v12, 0, -1, vcc
	v_cmp_le_u32_e32 vcc, s20, v7
	v_cndmask_b32_e64 v7, 0, -1, vcc
	v_cmp_eq_u32_e32 vcc, s21, v8
	v_cndmask_b32_e32 v7, v12, v7, vcc
	v_cmp_ne_u32_e32 vcc, 0, v7
	v_cndmask_b32_e64 v7, v13, v11, s[0:1]
	v_cndmask_b32_e32 v8, v9, v10, vcc
	v_cndmask_b32_e32 v7, v4, v7, vcc
.LBB0_4:                                ;   in Loop: Header=BB0_2 Depth=1
	s_andn2_saveexec_b64 s[0:1], s[22:23]
	s_cbranch_execz .LBB0_6
; %bb.5:                                ;   in Loop: Header=BB0_2 Depth=1
	v_cvt_f32_u32_e32 v4, s20
	s_sub_i32 s22, 0, s20
	v_rcp_iflag_f32_e32 v4, v4
	v_mul_f32_e32 v4, 0x4f7ffffe, v4
	v_cvt_u32_f32_e32 v4, v4
	v_mul_lo_u32 v7, s22, v4
	v_mul_hi_u32 v7, v4, v7
	v_add_u32_e32 v4, v4, v7
	v_mul_hi_u32 v4, v5, v4
	v_mul_lo_u32 v7, v4, s20
	v_add_u32_e32 v8, 1, v4
	v_sub_u32_e32 v7, v5, v7
	v_subrev_u32_e32 v9, s20, v7
	v_cmp_le_u32_e32 vcc, s20, v7
	v_cndmask_b32_e32 v7, v7, v9, vcc
	v_cndmask_b32_e32 v4, v4, v8, vcc
	v_add_u32_e32 v8, 1, v4
	v_cmp_le_u32_e32 vcc, s20, v7
	v_cndmask_b32_e32 v7, v4, v8, vcc
	v_mov_b32_e32 v8, v3
.LBB0_6:                                ;   in Loop: Header=BB0_2 Depth=1
	s_or_b64 exec, exec, s[0:1]
	v_mul_lo_u32 v4, v8, s20
	v_mul_lo_u32 v11, v7, s21
	v_mad_u64_u32 v[9:10], s[0:1], v7, s20, 0
	s_load_dwordx2 s[0:1], s[6:7], 0x0
	s_add_u32 s18, s18, 1
	v_add3_u32 v4, v10, v11, v4
	v_sub_co_u32_e32 v5, vcc, v5, v9
	v_subb_co_u32_e32 v4, vcc, v6, v4, vcc
	s_waitcnt lgkmcnt(0)
	v_mul_lo_u32 v4, s0, v4
	v_mul_lo_u32 v6, s1, v5
	v_mad_u64_u32 v[1:2], s[0:1], s0, v5, v[1:2]
	s_addc_u32 s19, s19, 0
	s_add_u32 s6, s6, 8
	v_add3_u32 v2, v6, v2, v4
	v_mov_b32_e32 v4, s10
	v_mov_b32_e32 v5, s11
	s_addc_u32 s7, s7, 0
	v_cmp_ge_u64_e32 vcc, s[18:19], v[4:5]
	s_add_u32 s16, s16, 8
	s_addc_u32 s17, s17, 0
	s_cbranch_vccnz .LBB0_9
; %bb.7:                                ;   in Loop: Header=BB0_2 Depth=1
	v_mov_b32_e32 v5, v7
	v_mov_b32_e32 v6, v8
	s_branch .LBB0_2
.LBB0_8:
	v_mov_b32_e32 v8, v6
	v_mov_b32_e32 v7, v5
.LBB0_9:
	s_lshl_b64 s[0:1], s[10:11], 3
	s_add_u32 s0, s2, s0
	s_addc_u32 s1, s3, s1
	s_load_dwordx2 s[2:3], s[0:1], 0x0
	s_load_dwordx2 s[6:7], s[4:5], 0x20
	v_mov_b32_e32 v152, 0
                                        ; implicit-def: $vgpr10_vgpr11
                                        ; implicit-def: $vgpr14_vgpr15
                                        ; implicit-def: $vgpr22_vgpr23
                                        ; implicit-def: $vgpr30_vgpr31
                                        ; implicit-def: $vgpr34_vgpr35
                                        ; implicit-def: $vgpr38_vgpr39
                                        ; implicit-def: $vgpr42_vgpr43
                                        ; implicit-def: $vgpr46_vgpr47
                                        ; implicit-def: $vgpr50_vgpr51
                                        ; implicit-def: $vgpr54_vgpr55
                                        ; implicit-def: $vgpr26_vgpr27
	s_waitcnt lgkmcnt(0)
	v_mad_u64_u32 v[68:69], s[0:1], s2, v7, v[1:2]
	s_mov_b32 s0, 0x2d02d03
	v_mul_hi_u32 v1, v0, s0
	v_mul_lo_u32 v3, s2, v8
	v_mul_lo_u32 v4, s3, v7
	v_cmp_gt_u64_e32 vcc, s[6:7], v[7:8]
	v_mul_u32_u24_e32 v1, 0x5b, v1
	v_sub_u32_e32 v153, v0, v1
	v_add3_u32 v69, v4, v69, v3
                                        ; implicit-def: $vgpr2_vgpr3
                                        ; implicit-def: $vgpr6_vgpr7
	s_and_saveexec_b64 s[2:3], vcc
	s_cbranch_execz .LBB0_13
; %bb.10:
	s_movk_i32 s0, 0x4d
	v_cmp_gt_u32_e64 s[0:1], s0, v153
                                        ; implicit-def: $vgpr24_vgpr25
                                        ; implicit-def: $vgpr52_vgpr53
                                        ; implicit-def: $vgpr48_vgpr49
                                        ; implicit-def: $vgpr44_vgpr45
                                        ; implicit-def: $vgpr40_vgpr41
                                        ; implicit-def: $vgpr36_vgpr37
                                        ; implicit-def: $vgpr32_vgpr33
                                        ; implicit-def: $vgpr28_vgpr29
                                        ; implicit-def: $vgpr20_vgpr21
                                        ; implicit-def: $vgpr12_vgpr13
                                        ; implicit-def: $vgpr8_vgpr9
                                        ; implicit-def: $vgpr4_vgpr5
                                        ; implicit-def: $vgpr0_vgpr1
	s_and_saveexec_b64 s[4:5], s[0:1]
	s_cbranch_execz .LBB0_12
; %bb.11:
	v_mad_u64_u32 v[0:1], s[0:1], s12, v153, 0
	v_add_u32_e32 v7, 0x4d, v153
	v_mad_u64_u32 v[4:5], s[0:1], s12, v7, 0
	v_mad_u64_u32 v[1:2], s[0:1], s13, v153, v[1:2]
	v_lshlrev_b64 v[2:3], 4, v[68:69]
	v_mov_b32_e32 v6, s15
	v_add_co_u32_e64 v8, s[0:1], s14, v2
	v_mov_b32_e32 v2, v5
	v_addc_co_u32_e64 v9, s[0:1], v6, v3, s[0:1]
	v_mad_u64_u32 v[2:3], s[0:1], s13, v7, v[2:3]
	v_add_u32_e32 v3, 0x9a, v153
	v_mad_u64_u32 v[6:7], s[0:1], s12, v3, 0
	v_lshlrev_b64 v[0:1], 4, v[0:1]
	v_mov_b32_e32 v5, v2
	v_add_co_u32_e64 v16, s[0:1], v8, v0
	v_mov_b32_e32 v2, v7
	v_addc_co_u32_e64 v17, s[0:1], v9, v1, s[0:1]
	v_lshlrev_b64 v[0:1], 4, v[4:5]
	v_mad_u64_u32 v[2:3], s[0:1], s13, v3, v[2:3]
	v_add_u32_e32 v5, 0xe7, v153
	v_mad_u64_u32 v[3:4], s[0:1], s12, v5, 0
	v_add_co_u32_e64 v18, s[0:1], v8, v0
	v_mov_b32_e32 v7, v2
	v_mov_b32_e32 v2, v4
	v_addc_co_u32_e64 v19, s[0:1], v9, v1, s[0:1]
	v_lshlrev_b64 v[0:1], 4, v[6:7]
	v_mad_u64_u32 v[4:5], s[0:1], s13, v5, v[2:3]
	v_add_u32_e32 v7, 0x134, v153
	v_mad_u64_u32 v[5:6], s[0:1], s12, v7, 0
	v_add_co_u32_e64 v56, s[0:1], v8, v0
	v_mov_b32_e32 v2, v6
	v_addc_co_u32_e64 v57, s[0:1], v9, v1, s[0:1]
	v_lshlrev_b64 v[0:1], 4, v[3:4]
	v_mad_u64_u32 v[2:3], s[0:1], s13, v7, v[2:3]
	v_add_u32_e32 v7, 0x181, v153
	v_mad_u64_u32 v[3:4], s[0:1], s12, v7, 0
	v_add_co_u32_e64 v58, s[0:1], v8, v0
	v_mov_b32_e32 v6, v2
	v_mov_b32_e32 v2, v4
	v_addc_co_u32_e64 v59, s[0:1], v9, v1, s[0:1]
	v_lshlrev_b64 v[0:1], 4, v[5:6]
	v_mad_u64_u32 v[4:5], s[0:1], s13, v7, v[2:3]
	v_add_u32_e32 v7, 0x1ce, v153
	v_mad_u64_u32 v[5:6], s[0:1], s12, v7, 0
	;; [unrolled: 15-line block ×5, first 2 shown]
	v_add_co_u32_e64 v74, s[0:1], v8, v0
	v_mov_b32_e32 v2, v6
	v_addc_co_u32_e64 v75, s[0:1], v9, v1, s[0:1]
	v_lshlrev_b64 v[0:1], 4, v[3:4]
	v_mad_u64_u32 v[2:3], s[0:1], s13, v7, v[2:3]
	v_add_co_u32_e64 v76, s[0:1], v8, v0
	v_mov_b32_e32 v6, v2
	v_addc_co_u32_e64 v77, s[0:1], v9, v1, s[0:1]
	v_lshlrev_b64 v[0:1], 4, v[5:6]
	v_add_co_u32_e64 v78, s[0:1], v8, v0
	v_addc_co_u32_e64 v79, s[0:1], v9, v1, s[0:1]
	global_load_dwordx4 v[24:27], v[16:17], off
	global_load_dwordx4 v[52:55], v[18:19], off
	;; [unrolled: 1-line block ×13, first 2 shown]
.LBB0_12:
	s_or_b64 exec, exec, s[4:5]
	v_mov_b32_e32 v152, v153
.LBB0_13:
	s_or_b64 exec, exec, s[2:3]
	s_waitcnt vmcnt(0)
	v_add_f64 v[18:19], v[0:1], v[52:53]
	s_mov_b32 s0, 0xe00740e9
	s_mov_b32 s2, 0x1ea71119
	;; [unrolled: 1-line block ×4, first 2 shown]
	v_add_f64 v[84:85], v[54:55], -v[2:3]
	v_add_f64 v[70:71], v[4:5], v[48:49]
	s_mov_b32 s24, 0x4267c47c
	v_mul_f64 v[56:57], v[18:19], s[0:1]
	v_mul_f64 v[58:59], v[18:19], s[2:3]
	s_mov_b32 s4, 0x42a4c3d2
	s_mov_b32 s30, 0xebaa3ed8
	s_mov_b32 s38, 0xb2365da1
	s_mov_b32 s25, 0xbfddbe06
	s_mov_b32 s5, 0xbfea55e2
	s_mov_b32 s31, 0x3fbedb7d
	s_mov_b32 s39, 0xbfd6b1d8
	v_add_f64 v[108:109], v[50:51], -v[6:7]
	v_mul_f64 v[16:17], v[70:71], s[2:3]
	v_fma_f64 v[64:65], v[84:85], s[24:25], v[56:57]
	v_mul_f64 v[62:63], v[18:19], s[30:31]
	v_mul_f64 v[60:61], v[70:71], s[38:39]
	v_fma_f64 v[66:67], v[84:85], s[4:5], v[58:59]
	s_mov_b32 s22, 0x66966769
	s_mov_b32 s36, 0x93053d00
	;; [unrolled: 1-line block ×6, first 2 shown]
	v_fma_f64 v[72:73], v[108:109], s[4:5], v[16:17]
	v_add_f64 v[74:75], v[24:25], v[64:65]
	v_fma_f64 v[76:77], v[84:85], s[22:23], v[62:63]
	v_mul_f64 v[64:65], v[70:71], s[36:37]
	v_add_f64 v[78:79], v[24:25], v[66:67]
	v_fma_f64 v[80:81], v[108:109], s[6:7], v[60:61]
	v_mul_f64 v[66:67], v[18:19], s[38:39]
	s_mov_b32 s10, 0x4bc48dbf
	s_mov_b32 s40, 0xd0032e0c
	;; [unrolled: 1-line block ×4, first 2 shown]
	v_add_f64 v[76:77], v[24:25], v[76:77]
	v_fma_f64 v[82:83], v[108:109], s[10:11], v[64:65]
	v_add_f64 v[72:73], v[72:73], v[74:75]
	v_mul_f64 v[112:113], v[18:19], s[40:41]
	v_fma_f64 v[74:75], v[84:85], s[6:7], v[66:67]
	v_add_f64 v[78:79], v[80:81], v[78:79]
	v_mul_f64 v[80:81], v[70:71], s[40:41]
	v_mul_f64 v[116:117], v[18:19], s[36:37]
	v_add_f64 v[92:93], v[8:9], v[44:45]
	s_mov_b32 s16, 0x24c2f84
	s_mov_b32 s17, 0xbfe5384d
	;; [unrolled: 1-line block ×4, first 2 shown]
	v_add_f64 v[76:77], v[82:83], v[76:77]
	v_fma_f64 v[18:19], v[84:85], s[16:17], v[112:113]
	v_add_f64 v[74:75], v[24:25], v[74:75]
	v_fma_f64 v[88:89], v[108:109], s[34:35], v[80:81]
	v_mul_f64 v[120:121], v[70:71], s[30:31]
	v_fma_f64 v[86:87], v[84:85], s[10:11], v[116:117]
	v_mul_f64 v[94:95], v[70:71], s[0:1]
	v_add_f64 v[142:143], v[46:47], -v[10:11]
	v_mul_f64 v[82:83], v[92:93], s[30:31]
	s_mov_b32 s19, 0x3fefc445
	s_mov_b32 s18, s22
	;; [unrolled: 1-line block ×4, first 2 shown]
	v_add_f64 v[18:19], v[24:25], v[18:19]
	v_fma_f64 v[70:71], v[108:109], s[18:19], v[120:121]
	v_add_f64 v[96:97], v[24:25], v[86:87]
	v_fma_f64 v[98:99], v[108:109], s[20:21], v[94:95]
	v_mul_f64 v[86:87], v[92:93], s[36:37]
	v_fma_f64 v[102:103], v[142:143], s[22:23], v[82:83]
	v_add_f64 v[74:75], v[88:89], v[74:75]
	v_mul_f64 v[88:89], v[92:93], s[38:39]
	v_mul_f64 v[90:91], v[92:93], s[0:1]
	;; [unrolled: 1-line block ×3, first 2 shown]
	v_add_f64 v[106:107], v[12:13], v[40:41]
	s_mov_b32 s43, 0x3fedeba7
	s_mov_b32 s42, s6
	v_add_f64 v[18:19], v[70:71], v[18:19]
	v_add_f64 v[70:71], v[98:99], v[96:97]
	v_fma_f64 v[104:105], v[142:143], s[10:11], v[86:87]
	v_add_f64 v[72:73], v[102:103], v[72:73]
	v_fma_f64 v[114:115], v[142:143], s[42:43], v[88:89]
	v_fma_f64 v[118:119], v[142:143], s[20:21], v[90:91]
	v_mul_f64 v[110:111], v[92:93], s[40:41]
	v_add_f64 v[146:147], v[42:43], -v[14:15]
	v_mul_f64 v[92:93], v[106:107], s[38:39]
	v_mul_f64 v[96:97], v[106:107], s[40:41]
	v_fma_f64 v[122:123], v[142:143], s[4:5], v[100:101]
	v_mul_f64 v[98:99], v[106:107], s[0:1]
	v_mul_f64 v[102:103], v[106:107], s[30:31]
	v_add_f64 v[78:79], v[104:105], v[78:79]
	v_fma_f64 v[104:105], v[142:143], s[16:17], v[110:111]
	v_add_f64 v[76:77], v[114:115], v[76:77]
	v_fma_f64 v[114:115], v[146:147], s[6:7], v[92:93]
	v_fma_f64 v[126:127], v[146:147], s[34:35], v[96:97]
	v_add_f64 v[74:75], v[118:119], v[74:75]
	v_fma_f64 v[118:119], v[146:147], s[20:21], v[98:99]
	v_fma_f64 v[128:129], v[146:147], s[22:23], v[102:103]
	v_add_f64 v[18:19], v[122:123], v[18:19]
	v_mul_f64 v[124:125], v[106:107], s[36:37]
	v_add_f64 v[122:123], v[20:21], v[36:37]
	v_mul_f64 v[130:131], v[106:107], s[2:3]
	s_mov_b32 s29, 0x3fcea1e5
	s_mov_b32 s28, s10
	;; [unrolled: 1-line block ×4, first 2 shown]
	v_add_f64 v[70:71], v[104:105], v[70:71]
	v_add_f64 v[72:73], v[114:115], v[72:73]
	;; [unrolled: 1-line block ×5, first 2 shown]
	v_fma_f64 v[118:119], v[146:147], s[28:29], v[124:125]
	v_add_f64 v[132:133], v[38:39], -v[22:23]
	v_mul_f64 v[104:105], v[122:123], s[40:41]
	v_mul_f64 v[106:107], v[122:123], s[30:31]
	;; [unrolled: 1-line block ×4, first 2 shown]
	v_fma_f64 v[128:129], v[146:147], s[26:27], v[130:131]
	v_mul_f64 v[136:137], v[122:123], s[0:1]
	v_add_f64 v[18:19], v[118:119], v[18:19]
	v_mul_f64 v[134:135], v[122:123], s[38:39]
	v_fma_f64 v[118:119], v[132:133], s[16:17], v[104:105]
	v_fma_f64 v[138:139], v[132:133], s[18:19], v[106:107]
	;; [unrolled: 1-line block ×4, first 2 shown]
	v_add_f64 v[70:71], v[128:129], v[70:71]
	v_add_f64 v[128:129], v[28:29], v[32:33]
	v_and_b32_e32 v150, 1, v150
	v_fma_f64 v[156:157], v[132:133], s[6:7], v[134:135]
	v_add_f64 v[154:155], v[118:119], v[72:73]
	v_add_f64 v[72:73], v[138:139], v[78:79]
	;; [unrolled: 1-line block ×4, first 2 shown]
	v_fma_f64 v[74:75], v[132:133], s[20:21], v[136:137]
	v_add_f64 v[138:139], v[34:35], -v[30:31]
	v_mul_f64 v[118:119], v[128:129], s[0:1]
	v_mul_f64 v[122:123], v[128:129], s[40:41]
	;; [unrolled: 1-line block ×6, first 2 shown]
	v_add_f64 v[18:19], v[74:75], v[18:19]
	v_add_f64 v[70:71], v[156:157], v[70:71]
	v_fma_f64 v[74:75], v[138:139], s[20:21], v[118:119]
	v_fma_f64 v[156:157], v[138:139], s[16:17], v[122:123]
	;; [unrolled: 1-line block ×6, first 2 shown]
	v_mov_b32_e32 v151, 0x3e9
	v_cmp_eq_u32_e64 s[0:1], 1, v150
	v_add_f64 v[72:73], v[74:75], v[72:73]
	v_add_f64 v[74:75], v[156:157], v[76:77]
	;; [unrolled: 1-line block ×6, first 2 shown]
	v_cndmask_b32_e64 v150, 0, v151, s[0:1]
	s_movk_i32 s0, 0x4d
	v_cmp_gt_u32_e64 s[2:3], s0, v153
	v_lshlrev_b32_e32 v154, 3, v150
	s_and_saveexec_b64 s[0:1], s[2:3]
	s_cbranch_execz .LBB0_15
; %bb.14:
	v_mul_f64 v[161:162], v[84:85], s[16:17]
	v_mul_f64 v[150:151], v[84:85], s[24:25]
	;; [unrolled: 1-line block ×8, first 2 shown]
	v_add_f64 v[112:113], v[112:113], -v[161:162]
	v_mul_f64 v[165:166], v[108:109], s[6:7]
	v_mul_f64 v[167:168], v[108:109], s[10:11]
	;; [unrolled: 1-line block ×5, first 2 shown]
	v_add_f64 v[84:85], v[116:117], -v[84:85]
	v_add_f64 v[116:117], v[120:121], -v[171:172]
	v_add_f64 v[112:113], v[24:25], v[112:113]
	v_add_f64 v[120:121], v[52:53], v[24:25]
	v_mul_f64 v[189:190], v[146:147], s[28:29]
	v_add_f64 v[56:57], v[56:57], -v[150:151]
	v_add_f64 v[94:95], v[94:95], -v[108:109]
	;; [unrolled: 1-line block ×3, first 2 shown]
	v_add_f64 v[84:85], v[24:25], v[84:85]
	v_add_f64 v[62:63], v[62:63], -v[157:158]
	v_add_f64 v[108:109], v[116:117], v[112:113]
	v_add_f64 v[112:113], v[48:49], v[120:121]
	v_add_f64 v[58:59], v[58:59], -v[155:156]
	v_add_f64 v[66:67], v[66:67], -v[159:160]
	v_mul_f64 v[173:174], v[142:143], s[22:23]
	v_add_f64 v[16:17], v[16:17], -v[163:164]
	v_add_f64 v[84:85], v[94:95], v[84:85]
	v_add_f64 v[94:95], v[124:125], -v[189:190]
	v_add_f64 v[100:101], v[100:101], v[108:109]
	v_add_f64 v[108:109], v[44:45], v[112:113]
	;; [unrolled: 1-line block ×3, first 2 shown]
	v_mul_f64 v[175:176], v[142:143], s[10:11]
	v_mul_f64 v[177:178], v[142:143], s[42:43]
	v_add_f64 v[64:65], v[64:65], -v[167:168]
	v_add_f64 v[62:63], v[24:25], v[62:63]
	v_add_f64 v[60:61], v[60:61], -v[165:166]
	v_add_f64 v[94:95], v[94:95], v[100:101]
	v_add_f64 v[100:101], v[40:41], v[108:109]
	;; [unrolled: 1-line block ×3, first 2 shown]
	v_mul_f64 v[179:180], v[142:143], s[20:21]
	v_mul_f64 v[142:143], v[142:143], s[16:17]
	v_add_f64 v[80:81], v[80:81], -v[169:170]
	v_add_f64 v[24:25], v[24:25], v[66:67]
	v_mul_f64 v[183:184], v[146:147], s[6:7]
	v_add_f64 v[82:83], v[82:83], -v[173:174]
	v_add_f64 v[100:101], v[36:37], v[100:101]
	v_add_f64 v[16:17], v[16:17], v[56:57]
	v_mul_f64 v[185:186], v[146:147], s[34:35]
	v_mul_f64 v[161:162], v[146:147], s[20:21]
	v_add_f64 v[66:67], v[88:89], -v[177:178]
	v_add_f64 v[62:63], v[64:65], v[62:63]
	v_add_f64 v[64:65], v[86:87], -v[175:176]
	v_add_f64 v[58:59], v[60:61], v[58:59]
	v_add_f64 v[100:101], v[32:33], v[100:101]
	v_mul_f64 v[187:188], v[146:147], s[22:23]
	v_mul_f64 v[116:117], v[132:133], s[20:21]
	v_add_f64 v[110:111], v[110:111], -v[142:143]
	v_add_f64 v[90:91], v[90:91], -v[179:180]
	v_add_f64 v[24:25], v[80:81], v[24:25]
	v_mul_f64 v[146:147], v[146:147], s[26:27]
	v_mul_f64 v[191:192], v[132:133], s[16:17]
	v_add_f64 v[100:101], v[28:29], v[100:101]
	v_add_f64 v[80:81], v[92:93], -v[183:184]
	v_add_f64 v[16:17], v[82:83], v[16:17]
	v_mul_f64 v[171:172], v[132:133], s[18:19]
	v_mul_f64 v[193:194], v[132:133], s[4:5]
	v_add_f64 v[60:61], v[98:99], -v[161:162]
	v_add_f64 v[62:63], v[66:67], v[62:63]
	v_add_f64 v[66:67], v[96:97], -v[185:186]
	v_add_f64 v[56:57], v[20:21], v[100:101]
	v_add_f64 v[58:59], v[64:65], v[58:59]
	v_mul_f64 v[195:196], v[132:133], s[28:29]
	v_add_f64 v[84:85], v[110:111], v[84:85]
	v_add_f64 v[110:111], v[136:137], -v[116:117]
	v_add_f64 v[102:103], v[102:103], -v[187:188]
	v_add_f64 v[24:25], v[90:91], v[24:25]
	v_mul_f64 v[120:121], v[132:133], s[6:7]
	v_add_f64 v[56:57], v[12:13], v[56:57]
	v_add_f64 v[130:131], v[130:131], -v[146:147]
	v_mul_f64 v[132:133], v[138:139], s[10:11]
	v_add_f64 v[82:83], v[104:105], -v[191:192]
	v_add_f64 v[16:17], v[80:81], v[16:17]
	v_mul_f64 v[112:113], v[138:139], s[20:21]
	v_mul_f64 v[116:117], v[138:139], s[16:17]
	v_add_f64 v[64:65], v[114:115], -v[193:194]
	v_add_f64 v[56:57], v[8:9], v[56:57]
	v_add_f64 v[60:61], v[60:61], v[62:63]
	v_add_f64 v[62:63], v[106:107], -v[171:172]
	v_add_f64 v[58:59], v[66:67], v[58:59]
	v_mul_f64 v[124:125], v[138:139], s[6:7]
	v_mul_f64 v[108:109], v[138:139], s[26:27]
	v_add_f64 v[94:95], v[110:111], v[94:95]
	v_add_f64 v[110:111], v[126:127], -v[195:196]
	v_add_f64 v[24:25], v[102:103], v[24:25]
	v_mul_f64 v[142:143], v[138:139], s[18:19]
	v_add_f64 v[120:121], v[134:135], -v[120:121]
	v_add_f64 v[84:85], v[130:131], v[84:85]
	v_add_f64 v[80:81], v[128:129], -v[132:133]
	v_add_f64 v[16:17], v[82:83], v[16:17]
	v_add_f64 v[56:57], v[4:5], v[56:57]
	v_add_f64 v[66:67], v[122:123], -v[116:117]
	v_add_f64 v[60:61], v[64:65], v[60:61]
	v_add_f64 v[64:65], v[118:119], -v[112:113]
	v_add_f64 v[58:59], v[62:63], v[58:59]
	v_add_f64 v[124:125], v[144:145], -v[124:125]
	v_add_f64 v[108:109], v[140:141], -v[108:109]
	v_add_f64 v[24:25], v[110:111], v[24:25]
	v_add_f64 v[136:137], v[148:149], -v[142:143]
	v_add_f64 v[62:63], v[120:121], v[84:85]
	v_add_f64 v[16:17], v[80:81], v[16:17]
	;; [unrolled: 1-line block ×7, first 2 shown]
	v_mul_u32_u24_e32 v64, 0x68, v153
	v_add_f64 v[62:63], v[136:137], v[62:63]
	v_add3_u32 v64, 0, v64, v154
	ds_write2_b64 v64, v[56:57], v[16:17] offset1:1
	ds_write2_b64 v64, v[58:59], v[60:61] offset0:2 offset1:3
	ds_write2_b64 v64, v[24:25], v[82:83] offset0:4 offset1:5
	;; [unrolled: 1-line block ×5, first 2 shown]
	ds_write_b64 v64, v[18:19] offset:96
.LBB0_15:
	s_or_b64 exec, exec, s[0:1]
	v_lshlrev_b32_e32 v16, 3, v153
	v_add_u32_e32 v157, 0, v16
	v_add_u32_e32 v156, v157, v154
	v_add3_u32 v155, 0, v154, v16
	v_add_u32_e32 v16, 0x400, v156
	s_waitcnt lgkmcnt(0)
	s_barrier
	ds_read2_b64 v[60:63], v16 offset0:15 offset1:158
	v_add_u32_e32 v16, 0xc00, v156
	ds_read2_b64 v[56:59], v16 offset0:45 offset1:188
	v_add_u32_e32 v16, 0x1400, v156
	ds_read_b64 v[24:25], v155
	ds_read2_b64 v[64:67], v16 offset0:75 offset1:218
	v_cmp_gt_u32_e64 s[0:1], 52, v153
                                        ; implicit-def: $vgpr80_vgpr81
	s_and_saveexec_b64 s[4:5], s[0:1]
	s_cbranch_execz .LBB0_17
; %bb.16:
	v_add_u32_e32 v70, 0xa00, v156
	ds_read2_b64 v[16:19], v16 offset0:23 offset1:166
	ds_read2_b64 v[76:79], v70 offset0:57 offset1:200
	;; [unrolled: 1-line block ×3, first 2 shown]
	ds_read_b64 v[80:81], v156 offset:7592
	s_waitcnt lgkmcnt(3)
	v_mov_b32_e32 v73, v17
	s_waitcnt lgkmcnt(2)
	v_mov_b32_e32 v74, v78
	v_mov_b32_e32 v75, v79
	s_waitcnt lgkmcnt(1)
	v_mov_b32_e32 v78, v84
	v_mov_b32_e32 v70, v82
	;; [unrolled: 1-line block ×5, first 2 shown]
.LBB0_17:
	s_or_b64 exec, exec, s[4:5]
	v_add_f64 v[0:1], v[52:53], -v[0:1]
	s_mov_b32 s21, 0xbfddbe06
	s_mov_b32 s20, 0x4267c47c
	v_add_f64 v[84:85], v[2:3], v[54:55]
	s_mov_b32 s16, 0xe00740e9
	s_mov_b32 s26, 0x42a4c3d2
	;; [unrolled: 1-line block ×4, first 2 shown]
	v_mul_f64 v[16:17], v[0:1], s[20:21]
	s_mov_b32 s27, 0xbfea55e2
	s_mov_b32 s31, 0xbfefc445
	v_mul_f64 v[52:53], v[0:1], s[26:27]
	v_mul_f64 v[82:83], v[0:1], s[30:31]
	s_mov_b32 s24, 0x2ef20147
	s_mov_b32 s28, 0x24c2f84
	;; [unrolled: 1-line block ×3, first 2 shown]
	v_fma_f64 v[88:89], v[84:85], s[16:17], -v[16:17]
	s_mov_b32 s6, 0x1ea71119
	s_mov_b32 s4, 0xebaa3ed8
	;; [unrolled: 1-line block ×7, first 2 shown]
	v_mul_f64 v[86:87], v[0:1], s[24:25]
	v_add_f64 v[102:103], v[26:27], v[88:89]
	v_mul_f64 v[88:89], v[0:1], s[28:29]
	v_mul_f64 v[94:95], v[0:1], s[34:35]
	v_fma_f64 v[90:91], v[84:85], s[6:7], -v[52:53]
	v_fma_f64 v[92:93], v[84:85], s[4:5], -v[82:83]
	v_add_f64 v[4:5], v[48:49], -v[4:5]
	s_mov_b32 s10, 0xb2365da1
	s_mov_b32 s18, 0xd0032e0c
	;; [unrolled: 1-line block ×6, first 2 shown]
	v_fma_f64 v[96:97], v[84:85], s[10:11], -v[86:87]
	v_fma_f64 v[98:99], v[84:85], s[18:19], -v[88:89]
	v_fma_f64 v[110:111], v[84:85], s[22:23], -v[94:95]
	s_mov_b32 s21, 0x3fddbe06
	v_add_f64 v[104:105], v[26:27], v[90:91]
	v_add_f64 v[106:107], v[26:27], v[92:93]
	;; [unrolled: 1-line block ×3, first 2 shown]
	v_mul_f64 v[48:49], v[4:5], s[26:27]
	v_mul_f64 v[90:91], v[4:5], s[24:25]
	;; [unrolled: 1-line block ×4, first 2 shown]
	s_mov_b32 s39, 0x3fe5384d
	s_mov_b32 s38, s28
	;; [unrolled: 1-line block ×4, first 2 shown]
	v_add_f64 v[0:1], v[26:27], v[96:97]
	v_add_f64 v[108:109], v[26:27], v[98:99]
	v_mul_f64 v[96:97], v[4:5], s[38:39]
	v_mul_f64 v[98:99], v[4:5], s[36:37]
	v_add_f64 v[4:5], v[26:27], v[110:111]
	v_add_f64 v[110:111], v[44:45], -v[8:9]
	v_fma_f64 v[112:113], v[114:115], s[6:7], -v[48:49]
	v_fma_f64 v[116:117], v[114:115], s[10:11], -v[90:91]
	v_fma_f64 v[118:119], v[114:115], s[22:23], -v[92:93]
	v_fma_f64 v[122:123], v[114:115], s[16:17], -v[100:101]
	v_add_f64 v[146:147], v[10:11], v[46:47]
	s_mov_b32 s41, 0x3fedeba7
	s_mov_b32 s40, s24
	v_mul_f64 v[8:9], v[110:111], s[30:31]
	v_add_f64 v[112:113], v[112:113], v[102:103]
	v_add_f64 v[116:117], v[116:117], v[104:105]
	;; [unrolled: 1-line block ×3, first 2 shown]
	v_fma_f64 v[106:107], v[114:115], s[18:19], -v[96:97]
	v_fma_f64 v[120:121], v[114:115], s[4:5], -v[98:99]
	v_mul_f64 v[44:45], v[110:111], s[34:35]
	v_mul_f64 v[102:103], v[110:111], s[40:41]
	;; [unrolled: 1-line block ×3, first 2 shown]
	v_add_f64 v[4:5], v[122:123], v[4:5]
	v_add_f64 v[122:123], v[40:41], -v[12:13]
	v_fma_f64 v[124:125], v[146:147], s[4:5], -v[8:9]
	v_add_f64 v[0:1], v[106:107], v[0:1]
	v_add_f64 v[120:121], v[120:121], v[108:109]
	v_fma_f64 v[126:127], v[146:147], s[22:23], -v[44:45]
	v_fma_f64 v[128:129], v[146:147], s[10:11], -v[102:103]
	;; [unrolled: 1-line block ×3, first 2 shown]
	v_mul_f64 v[108:109], v[110:111], s[26:27]
	v_mul_f64 v[106:107], v[110:111], s[28:29]
	v_add_f64 v[148:149], v[14:15], v[42:43]
	v_mul_f64 v[12:13], v[122:123], s[24:25]
	v_mul_f64 v[40:41], v[122:123], s[38:39]
	v_add_f64 v[124:125], v[124:125], v[112:113]
	v_mul_f64 v[112:113], v[122:123], s[30:31]
	s_mov_b32 s31, 0x3fcea1e5
	s_mov_b32 s30, s34
	v_add_f64 v[126:127], v[126:127], v[116:117]
	v_add_f64 v[128:129], v[128:129], v[118:119]
	;; [unrolled: 1-line block ×3, first 2 shown]
	v_fma_f64 v[118:119], v[146:147], s[6:7], -v[108:109]
	v_fma_f64 v[130:131], v[146:147], s[18:19], -v[106:107]
	;; [unrolled: 1-line block ×4, first 2 shown]
	v_mul_f64 v[110:111], v[122:123], s[20:21]
	v_mul_f64 v[116:117], v[122:123], s[30:31]
	v_add_f64 v[20:21], v[36:37], -v[20:21]
	s_mov_b32 s39, 0x3fea55e2
	s_mov_b32 s38, s26
	v_add_f64 v[136:137], v[118:119], v[120:121]
	v_add_f64 v[4:5], v[130:131], v[4:5]
	;; [unrolled: 1-line block ×4, first 2 shown]
	v_fma_f64 v[36:37], v[148:149], s[16:17], -v[110:111]
	v_fma_f64 v[132:133], v[148:149], s[4:5], -v[112:113]
	;; [unrolled: 1-line block ×3, first 2 shown]
	v_mul_f64 v[126:127], v[122:123], s[38:39]
	v_add_f64 v[150:151], v[22:23], v[38:39]
	v_mul_f64 v[118:119], v[20:21], s[28:29]
	v_mul_f64 v[120:121], v[20:21], s[36:37]
	;; [unrolled: 1-line block ×4, first 2 shown]
	v_add_f64 v[36:37], v[36:37], v[128:129]
	v_add_f64 v[0:1], v[132:133], v[0:1]
	v_fma_f64 v[140:141], v[148:149], s[6:7], -v[126:127]
	v_add_f64 v[158:159], v[138:139], v[136:137]
	v_fma_f64 v[136:137], v[150:151], s[18:19], -v[118:119]
	v_fma_f64 v[138:139], v[150:151], s[4:5], -v[120:121]
	;; [unrolled: 1-line block ×4, first 2 shown]
	v_mul_f64 v[128:129], v[20:21], s[20:21]
	v_mul_f64 v[132:133], v[20:21], s[24:25]
	v_add_f64 v[20:21], v[32:33], -v[28:29]
	v_add_f64 v[4:5], v[140:141], v[4:5]
	v_add_f64 v[28:29], v[136:137], v[130:131]
	;; [unrolled: 1-line block ×5, first 2 shown]
	v_fma_f64 v[0:1], v[150:151], s[16:17], -v[128:129]
	v_fma_f64 v[162:163], v[150:151], s[10:11], -v[132:133]
	v_add_f64 v[144:145], v[30:31], v[34:35]
	v_mul_f64 v[142:143], v[20:21], s[34:35]
	v_mul_f64 v[140:141], v[20:21], s[20:21]
	;; [unrolled: 1-line block ×6, first 2 shown]
	v_add_f64 v[158:159], v[0:1], v[158:159]
	v_add_f64 v[162:163], v[162:163], v[4:5]
	v_fma_f64 v[0:1], v[144:145], s[22:23], -v[142:143]
	v_fma_f64 v[20:21], v[144:145], s[16:17], -v[140:141]
	;; [unrolled: 1-line block ×6, first 2 shown]
	s_waitcnt lgkmcnt(0)
	s_barrier
	v_add_f64 v[4:5], v[0:1], v[28:29]
	v_add_f64 v[0:1], v[20:21], v[32:33]
	;; [unrolled: 1-line block ×6, first 2 shown]
	s_and_saveexec_b64 s[20:21], s[2:3]
	s_cbranch_execz .LBB0_19
; %bb.18:
	v_add_f64 v[54:55], v[54:55], v[26:27]
	v_mul_f64 v[158:159], v[84:85], s[16:17]
	v_mul_f64 v[160:161], v[84:85], s[6:7]
	;; [unrolled: 1-line block ×7, first 2 shown]
	v_add_f64 v[50:51], v[50:51], v[54:55]
	v_mul_f64 v[54:55], v[114:115], s[10:11]
	v_mul_f64 v[170:171], v[114:115], s[22:23]
	;; [unrolled: 1-line block ×5, first 2 shown]
	v_add_f64 v[16:17], v[158:159], v[16:17]
	v_add_f64 v[52:53], v[160:161], v[52:53]
	;; [unrolled: 1-line block ×6, first 2 shown]
	v_mul_f64 v[176:177], v[146:147], s[4:5]
	v_mul_f64 v[178:179], v[146:147], s[22:23]
	;; [unrolled: 1-line block ×4, first 2 shown]
	v_add_f64 v[42:43], v[42:43], v[46:47]
	v_mul_f64 v[182:183], v[146:147], s[6:7]
	v_mul_f64 v[146:147], v[146:147], s[18:19]
	v_add_f64 v[16:17], v[26:27], v[16:17]
	v_add_f64 v[52:53], v[26:27], v[52:53]
	;; [unrolled: 1-line block ×4, first 2 shown]
	v_mul_f64 v[184:185], v[148:149], s[10:11]
	v_add_f64 v[38:39], v[38:39], v[42:43]
	v_mul_f64 v[186:187], v[148:149], s[18:19]
	v_mul_f64 v[188:189], v[148:149], s[16:17]
	v_mul_f64 v[46:47], v[148:149], s[4:5]
	v_mul_f64 v[190:191], v[148:149], s[22:23]
	v_mul_f64 v[148:149], v[148:149], s[6:7]
	v_add_f64 v[8:9], v[176:177], v[8:9]
	v_add_f64 v[44:45], v[178:179], v[44:45]
	;; [unrolled: 1-line block ×5, first 2 shown]
	v_mul_f64 v[192:193], v[150:151], s[18:19]
	v_mul_f64 v[194:195], v[150:151], s[4:5]
	;; [unrolled: 1-line block ×5, first 2 shown]
	v_add_f64 v[30:31], v[30:31], v[34:35]
	v_add_f64 v[34:35], v[26:27], v[38:39]
	;; [unrolled: 1-line block ×10, first 2 shown]
	v_mul_f64 v[150:151], v[150:151], s[10:11]
	v_add_f64 v[16:17], v[38:39], v[16:17]
	v_add_f64 v[30:31], v[48:49], v[52:53]
	;; [unrolled: 1-line block ×22, first 2 shown]
	v_mul_f64 v[200:201], v[144:145], s[22:23]
	v_add_f64 v[10:11], v[10:11], v[14:15]
	v_add_f64 v[8:9], v[12:13], v[8:9]
	;; [unrolled: 1-line block ×13, first 2 shown]
	v_mul_f64 v[88:89], v[144:145], s[16:17]
	v_mul_f64 v[94:95], v[144:145], s[18:19]
	;; [unrolled: 1-line block ×5, first 2 shown]
	v_add_f64 v[6:7], v[6:7], v[10:11]
	v_add_f64 v[8:9], v[30:31], v[8:9]
	v_add_f64 v[10:11], v[34:35], v[12:13]
	v_add_f64 v[12:13], v[38:39], v[14:15]
	v_add_f64 v[14:15], v[40:41], v[16:17]
	v_add_f64 v[16:17], v[42:43], v[22:23]
	v_add_f64 v[22:23], v[44:45], v[26:27]
	v_add_f64 v[26:27], v[200:201], v[142:143]
	v_add_f64 v[30:31], v[88:89], v[140:141]
	v_add_f64 v[34:35], v[94:95], v[138:139]
	v_add_f64 v[38:39], v[84:85], v[136:137]
	v_add_f64 v[40:41], v[50:51], v[134:135]
	v_add_f64 v[42:43], v[46:47], v[130:131]
	v_add_f64 v[2:3], v[2:3], v[6:7]
	v_add_f64 v[6:7], v[26:27], v[8:9]
	v_add_f64 v[8:9], v[30:31], v[10:11]
	v_add_f64 v[10:11], v[34:35], v[12:13]
	v_add_f64 v[12:13], v[38:39], v[14:15]
	v_add_f64 v[14:15], v[40:41], v[16:17]
	v_add_f64 v[16:17], v[42:43], v[22:23]
	v_mul_u32_u24_e32 v22, 0x60, v153
	v_add3_u32 v22, v157, v22, v154
	ds_write2_b64 v22, v[2:3], v[6:7] offset1:1
	ds_write2_b64 v22, v[8:9], v[10:11] offset0:2 offset1:3
	ds_write2_b64 v22, v[12:13], v[14:15] offset0:4 offset1:5
	;; [unrolled: 1-line block ×5, first 2 shown]
	ds_write_b64 v22, v[4:5] offset:96
.LBB0_19:
	s_or_b64 exec, exec, s[20:21]
	v_add_u32_e32 v2, 0x400, v156
	s_waitcnt lgkmcnt(0)
	s_barrier
	ds_read2_b64 v[14:17], v2 offset0:15 offset1:158
	v_add_u32_e32 v2, 0xc00, v156
	ds_read2_b64 v[6:9], v2 offset0:45 offset1:188
	v_add_u32_e32 v2, 0x1400, v156
	ds_read_b64 v[22:23], v155
	ds_read2_b64 v[10:13], v2 offset0:75 offset1:218
                                        ; implicit-def: $vgpr26_vgpr27
	s_and_saveexec_b64 s[2:3], s[0:1]
	s_cbranch_execz .LBB0_21
; %bb.20:
	v_add_u32_e32 v0, 0xa00, v156
	ds_read2_b64 v[2:5], v2 offset0:23 offset1:166
	ds_read2_b64 v[28:31], v0 offset0:57 offset1:200
	;; [unrolled: 1-line block ×3, first 2 shown]
	ds_read_b64 v[26:27], v156 offset:7592
	s_waitcnt lgkmcnt(3)
	v_mov_b32_e32 v0, v2
	s_waitcnt lgkmcnt(2)
	v_mov_b32_e32 v33, v29
	v_mov_b32_e32 v20, v30
	;; [unrolled: 1-line block ×3, first 2 shown]
	s_waitcnt lgkmcnt(1)
	v_mov_b32_e32 v28, v34
	v_mov_b32_e32 v1, v3
	;; [unrolled: 1-line block ×4, first 2 shown]
.LBB0_21:
	s_or_b64 exec, exec, s[2:3]
	s_movk_i32 s2, 0x4f
	v_mul_lo_u16_sdwa v2, v153, s2 dst_sel:DWORD dst_unused:UNUSED_PAD src0_sel:BYTE_0 src1_sel:DWORD
	v_lshrrev_b16_e32 v2, 10, v2
	v_mul_lo_u16_e32 v3, 13, v2
	v_sub_u16_e32 v3, v153, v3
	v_mov_b32_e32 v30, 6
	v_mul_u32_u24_sdwa v31, v3, v30 dst_sel:DWORD dst_unused:UNUSED_PAD src0_sel:BYTE_0 src1_sel:DWORD
	v_lshlrev_b32_e32 v31, 4, v31
	global_load_dwordx4 v[38:41], v31, s[8:9] offset:16
	global_load_dwordx4 v[42:45], v31, s[8:9]
	global_load_dwordx4 v[46:49], v31, s[8:9] offset:48
	global_load_dwordx4 v[86:89], v31, s[8:9] offset:32
	;; [unrolled: 1-line block ×4, first 2 shown]
	v_add_u16_e32 v31, 0x5b, v153
	v_mul_lo_u16_sdwa v34, v31, s2 dst_sel:DWORD dst_unused:UNUSED_PAD src0_sel:BYTE_0 src1_sel:DWORD
	v_lshrrev_b16_e32 v82, 10, v34
	v_mul_lo_u16_e32 v34, 13, v82
	v_sub_u16_e32 v83, v31, v34
	v_mul_u32_u24_sdwa v30, v83, v30 dst_sel:DWORD dst_unused:UNUSED_PAD src0_sel:BYTE_0 src1_sel:DWORD
	v_lshlrev_b32_e32 v30, 4, v30
	global_load_dwordx4 v[98:101], v30, s[8:9]
	global_load_dwordx4 v[102:105], v30, s[8:9] offset:16
	global_load_dwordx4 v[106:109], v30, s[8:9] offset:32
	;; [unrolled: 1-line block ×5, first 2 shown]
	s_movk_i32 s30, 0x2d8
	v_mov_b32_e32 v85, 3
	v_mad_u32_u24 v2, v2, s30, 0
	v_lshlrev_b32_sdwa v3, v85, v3 dst_sel:DWORD dst_unused:UNUSED_PAD src0_sel:DWORD src1_sel:BYTE_0
	v_add3_u32 v84, v2, v3, v154
	s_mov_b32 s4, 0x37e14327
	s_mov_b32 s10, 0xe976ee23
	;; [unrolled: 1-line block ×20, first 2 shown]
	s_waitcnt vmcnt(0) lgkmcnt(0)
	s_barrier
	v_mul_f64 v[34:35], v[16:17], v[40:41]
	v_mul_f64 v[2:3], v[14:15], v[44:45]
	;; [unrolled: 1-line block ×11, first 2 shown]
	v_fma_f64 v[2:3], v[60:61], v[42:43], -v[2:3]
	v_fma_f64 v[52:53], v[14:15], v[42:43], v[30:31]
	v_fma_f64 v[50:51], v[62:63], v[38:39], -v[34:35]
	v_fma_f64 v[14:15], v[66:67], v[90:91], -v[124:125]
	;; [unrolled: 1-line block ×3, first 2 shown]
	v_mul_f64 v[92:93], v[66:67], v[92:93]
	v_fma_f64 v[16:17], v[16:17], v[38:39], v[40:41]
	v_fma_f64 v[54:55], v[56:57], v[86:87], -v[44:45]
	v_fma_f64 v[6:7], v[6:7], v[86:87], v[88:89]
	v_fma_f64 v[56:57], v[10:11], v[94:95], v[96:97]
	v_fma_f64 v[10:11], v[58:59], v[46:47], -v[122:123]
	v_fma_f64 v[8:9], v[8:9], v[46:47], v[48:49]
	v_add_f64 v[38:39], v[2:3], v[14:15]
	v_add_f64 v[40:41], v[50:51], v[60:61]
	v_fma_f64 v[12:13], v[12:13], v[90:91], v[92:93]
	v_mul_f64 v[126:127], v[36:37], v[100:101]
	v_mul_f64 v[128:129], v[32:33], v[104:105]
	v_add_f64 v[42:43], v[16:17], -v[56:57]
	v_add_f64 v[48:49], v[54:55], v[10:11]
	v_add_f64 v[58:59], v[8:9], -v[6:7]
	v_mul_f64 v[100:101], v[78:79], v[100:101]
	v_add_f64 v[66:67], v[40:41], v[38:39]
	v_add_f64 v[64:65], v[52:53], -v[12:13]
	v_fma_f64 v[30:31], v[78:79], v[98:99], -v[126:127]
	v_mul_f64 v[104:105], v[76:77], v[104:105]
	v_fma_f64 v[34:35], v[76:77], v[102:103], -v[128:129]
	v_add_f64 v[78:79], v[38:39], -v[48:49]
	v_add_f64 v[88:89], v[58:59], -v[42:43]
	v_mul_f64 v[130:131], v[20:21], v[108:109]
	v_add_f64 v[66:67], v[48:49], v[66:67]
	v_add_f64 v[76:77], v[42:43], -v[64:65]
	v_add_f64 v[48:49], v[48:49], -v[40:41]
	v_add_f64 v[42:43], v[58:59], v[42:43]
	v_add_f64 v[58:59], v[64:65], -v[58:59]
	v_mul_f64 v[78:79], v[78:79], s[4:5]
	v_mul_f64 v[88:89], v[88:89], s[10:11]
	v_mul_f64 v[108:109], v[74:75], v[108:109]
	v_add_f64 v[92:93], v[24:25], v[66:67]
	v_mul_f64 v[90:91], v[76:77], s[6:7]
	v_add_f64 v[24:25], v[40:41], -v[38:39]
	v_mul_f64 v[38:39], v[48:49], s[2:3]
	v_add_f64 v[40:41], v[42:43], v[64:65]
	v_fma_f64 v[42:43], v[48:49], s[2:3], v[78:79]
	v_fma_f64 v[48:49], v[58:59], s[22:23], v[88:89]
	v_fma_f64 v[64:65], v[76:77], s[6:7], -v[88:89]
	v_fma_f64 v[66:67], v[66:67], s[16:17], v[92:93]
	v_fma_f64 v[58:59], v[58:59], s[26:27], -v[90:91]
	v_fma_f64 v[76:77], v[24:25], s[20:21], -v[78:79]
	;; [unrolled: 1-line block ×3, first 2 shown]
	v_mul_f64 v[132:133], v[0:1], v[112:113]
	v_mul_f64 v[112:113], v[72:73], v[112:113]
	;; [unrolled: 1-line block ×6, first 2 shown]
	v_fma_f64 v[24:25], v[74:75], v[106:107], -v[130:131]
	v_fma_f64 v[38:39], v[20:21], v[106:107], v[108:109]
	v_fma_f64 v[20:21], v[40:41], s[24:25], v[48:49]
	v_add_f64 v[74:75], v[42:43], v[66:67]
	v_fma_f64 v[64:65], v[40:41], s[24:25], v[64:65]
	v_fma_f64 v[58:59], v[40:41], s[24:25], v[58:59]
	v_add_f64 v[76:77], v[76:77], v[66:67]
	v_add_f64 v[66:67], v[78:79], v[66:67]
	v_fma_f64 v[36:37], v[36:37], v[98:99], v[100:101]
	v_fma_f64 v[32:33], v[32:33], v[102:103], v[104:105]
	v_fma_f64 v[40:41], v[72:73], v[110:111], -v[132:133]
	v_fma_f64 v[42:43], v[0:1], v[110:111], v[112:113]
	v_fma_f64 v[44:45], v[18:19], v[114:115], -v[44:45]
	;; [unrolled: 2-line block ×3, first 2 shown]
	v_add_f64 v[0:1], v[20:21], v[74:75]
	v_fma_f64 v[26:27], v[26:27], v[118:119], v[86:87]
	v_add_f64 v[4:5], v[58:59], v[76:77]
	v_add_f64 v[18:19], v[66:67], -v[64:65]
	v_add_f64 v[62:63], v[64:65], v[66:67]
	v_add_f64 v[58:59], v[76:77], -v[58:59]
	v_add_f64 v[20:21], v[74:75], -v[20:21]
	ds_write2_b64 v84, v[92:93], v[0:1] offset1:13
	ds_write2_b64 v84, v[4:5], v[18:19] offset0:26 offset1:39
	ds_write2_b64 v84, v[62:63], v[58:59] offset0:52 offset1:65
	ds_write_b64 v84, v[20:21] offset:624
	s_and_saveexec_b64 s[28:29], s[0:1]
	s_cbranch_execz .LBB0_23
; %bb.22:
	v_add_f64 v[0:1], v[34:35], v[44:45]
	v_add_f64 v[4:5], v[30:31], v[48:49]
	v_add_f64 v[18:19], v[42:43], -v[38:39]
	v_add_f64 v[20:21], v[32:33], -v[46:47]
	v_add_f64 v[58:59], v[24:25], v[40:41]
	v_add_f64 v[62:63], v[36:37], -v[26:27]
	v_add_f64 v[64:65], v[0:1], v[4:5]
	v_add_f64 v[66:67], v[18:19], -v[20:21]
	v_add_f64 v[72:73], v[4:5], -v[58:59]
	;; [unrolled: 1-line block ×4, first 2 shown]
	v_add_f64 v[20:21], v[18:19], v[20:21]
	v_add_f64 v[18:19], v[62:63], -v[18:19]
	v_add_f64 v[58:59], v[58:59], v[64:65]
	v_add_f64 v[0:1], v[0:1], -v[4:5]
	v_mul_f64 v[4:5], v[66:67], s[10:11]
	v_mul_f64 v[64:65], v[72:73], s[4:5]
	;; [unrolled: 1-line block ×4, first 2 shown]
	v_add_f64 v[20:21], v[20:21], v[62:63]
	v_add_f64 v[70:71], v[70:71], v[58:59]
	v_fma_f64 v[62:63], v[18:19], s[22:23], v[4:5]
	v_fma_f64 v[78:79], v[0:1], s[20:21], -v[64:65]
	v_fma_f64 v[18:19], v[18:19], s[26:27], -v[66:67]
	;; [unrolled: 1-line block ×4, first 2 shown]
	v_fma_f64 v[64:65], v[76:77], s[2:3], v[64:65]
	v_fma_f64 v[58:59], v[58:59], s[16:17], v[70:71]
	;; [unrolled: 1-line block ×5, first 2 shown]
	v_add_f64 v[20:21], v[78:79], v[58:59]
	v_add_f64 v[0:1], v[0:1], v[58:59]
	;; [unrolled: 1-line block ×3, first 2 shown]
	v_add_f64 v[64:65], v[20:21], -v[18:19]
	v_add_f64 v[66:67], v[0:1], -v[4:5]
	v_add_f64 v[72:73], v[62:63], v[58:59]
	v_add_f64 v[18:19], v[18:19], v[20:21]
	;; [unrolled: 1-line block ×3, first 2 shown]
	v_add_f64 v[4:5], v[58:59], -v[62:63]
	v_mad_u32_u24 v20, v82, s30, 0
	v_lshlrev_b32_sdwa v21, v85, v83 dst_sel:DWORD dst_unused:UNUSED_PAD src0_sel:DWORD src1_sel:BYTE_0
	v_add3_u32 v20, v20, v21, v154
	ds_write2_b64 v20, v[70:71], v[72:73] offset1:13
	ds_write2_b64 v20, v[18:19], v[66:67] offset0:26 offset1:39
	ds_write2_b64 v20, v[0:1], v[64:65] offset0:52 offset1:65
	ds_write_b64 v20, v[4:5] offset:624
.LBB0_23:
	s_or_b64 exec, exec, s[28:29]
	v_add_f64 v[4:5], v[52:53], v[12:13]
	v_add_f64 v[12:13], v[16:17], v[56:57]
	v_add_f64 v[0:1], v[50:51], -v[60:61]
	v_add_f64 v[6:7], v[6:7], v[8:9]
	v_add_f64 v[8:9], v[10:11], -v[54:55]
	v_add_f64 v[10:11], v[2:3], -v[14:15]
	s_waitcnt lgkmcnt(0)
	s_barrier
	v_add_f64 v[2:3], v[12:13], v[4:5]
	ds_read_b64 v[20:21], v155
	v_add_f64 v[14:15], v[4:5], -v[6:7]
	v_add_f64 v[16:17], v[8:9], -v[0:1]
	;; [unrolled: 1-line block ×3, first 2 shown]
	v_add_f64 v[52:53], v[8:9], v[0:1]
	v_add_f64 v[8:9], v[10:11], -v[8:9]
	v_add_f64 v[4:5], v[12:13], -v[4:5]
	v_add_f64 v[50:51], v[6:7], v[2:3]
	v_add_f64 v[6:7], v[6:7], -v[12:13]
	v_mul_f64 v[14:15], v[14:15], s[4:5]
	v_mul_f64 v[16:17], v[16:17], s[10:11]
	;; [unrolled: 1-line block ×3, first 2 shown]
	v_add_f64 v[10:11], v[52:53], v[10:11]
	ds_read2_b64 v[0:3], v156 offset0:91 offset1:182
	v_add_u32_e32 v64, 0x1800, v156
	v_add_f64 v[22:23], v[22:23], v[50:51]
	v_mul_f64 v[12:13], v[6:7], s[2:3]
	v_fma_f64 v[6:7], v[6:7], s[2:3], v[14:15]
	v_fma_f64 v[52:53], v[8:9], s[22:23], v[16:17]
	v_fma_f64 v[16:17], v[18:19], s[6:7], -v[16:17]
	v_fma_f64 v[8:9], v[8:9], s[26:27], -v[54:55]
	;; [unrolled: 1-line block ×3, first 2 shown]
	v_fma_f64 v[18:19], v[50:51], s[16:17], v[22:23]
	v_fma_f64 v[4:5], v[4:5], s[18:19], -v[12:13]
	v_add_u32_e32 v12, 0x800, v156
	v_fma_f64 v[50:51], v[10:11], s[24:25], v[52:53]
	v_fma_f64 v[52:53], v[10:11], s[24:25], v[16:17]
	;; [unrolled: 1-line block ×3, first 2 shown]
	v_add_u32_e32 v13, 0xc00, v156
	v_add_f64 v[10:11], v[6:7], v[18:19]
	v_add_f64 v[54:55], v[14:15], v[18:19]
	;; [unrolled: 1-line block ×3, first 2 shown]
	v_add_u32_e32 v14, 0x1000, v156
	ds_read2_b64 v[4:7], v12 offset0:17 offset1:108
	ds_read2_b64 v[16:19], v13 offset0:71 offset1:162
	;; [unrolled: 1-line block ×3, first 2 shown]
	v_add_f64 v[58:59], v[10:11], -v[50:51]
	v_add_f64 v[60:61], v[54:55], -v[8:9]
	v_add_f64 v[62:63], v[52:53], v[56:57]
	v_add_f64 v[52:53], v[56:57], -v[52:53]
	v_add_f64 v[54:55], v[8:9], v[54:55]
	v_add_f64 v[50:51], v[50:51], v[10:11]
	ds_read2_b64 v[8:11], v64 offset0:51 offset1:142
	s_waitcnt lgkmcnt(0)
	s_barrier
	ds_write2_b64 v84, v[22:23], v[58:59] offset1:13
	ds_write2_b64 v84, v[60:61], v[62:63] offset0:26 offset1:39
	ds_write2_b64 v84, v[52:53], v[54:55] offset0:52 offset1:65
	ds_write_b64 v84, v[50:51] offset:624
	s_and_saveexec_b64 s[2:3], s[0:1]
	s_cbranch_execz .LBB0_25
; %bb.24:
	v_add_f64 v[22:23], v[36:37], v[26:27]
	v_add_f64 v[26:27], v[32:33], v[46:47]
	v_add_f64 v[32:33], v[34:35], -v[44:45]
	v_add_f64 v[34:35], v[38:39], v[42:43]
	v_add_f64 v[24:25], v[40:41], -v[24:25]
	v_add_f64 v[30:31], v[30:31], -v[48:49]
	s_mov_b32 s4, 0x36b3c0b5
	s_mov_b32 s0, 0x37e14327
	s_mov_b32 s5, 0x3fac98ee
	v_add_f64 v[36:37], v[26:27], v[22:23]
	s_mov_b32 s1, 0x3fe948f6
	v_add_f64 v[38:39], v[22:23], -v[34:35]
	v_add_f64 v[40:41], v[24:25], v[32:33]
	v_add_f64 v[42:43], v[24:25], -v[32:33]
	v_add_f64 v[32:33], v[32:33], -v[30:31]
	s_mov_b32 s6, 0xe976ee23
	v_add_f64 v[22:23], v[26:27], -v[22:23]
	v_add_f64 v[36:37], v[34:35], v[36:37]
	v_add_f64 v[34:35], v[34:35], -v[26:27]
	s_mov_b32 s7, 0xbfe11646
	s_mov_b32 s10, 0x429ad128
	v_mul_f64 v[38:39], v[38:39], s[0:1]
	s_mov_b32 s11, 0x3febfeb5
	v_add_f64 v[24:25], v[30:31], -v[24:25]
	v_add_f64 v[30:31], v[40:41], v[30:31]
	v_add_f64 v[28:29], v[28:29], v[36:37]
	v_mul_f64 v[26:27], v[34:35], s[4:5]
	v_mul_f64 v[40:41], v[42:43], s[6:7]
	;; [unrolled: 1-line block ×3, first 2 shown]
	s_mov_b32 s1, 0x3fe77f67
	s_mov_b32 s0, 0x5476071b
	v_fma_f64 v[34:35], v[34:35], s[4:5], v[38:39]
	v_fma_f64 v[36:37], v[36:37], s[16:17], v[28:29]
	v_fma_f64 v[26:27], v[22:23], s[0:1], -v[26:27]
	s_mov_b32 s1, 0xbfe77f67
	v_fma_f64 v[22:23], v[22:23], s[0:1], -v[38:39]
	s_mov_b32 s1, 0x3fd5d0dc
	s_mov_b32 s0, 0xb247c609
	v_fma_f64 v[38:39], v[24:25], s[0:1], v[40:41]
	s_mov_b32 s1, 0xbfd5d0dc
	v_fma_f64 v[24:25], v[24:25], s[0:1], -v[42:43]
	v_fma_f64 v[32:33], v[32:33], s[10:11], -v[40:41]
	s_mov_b32 s0, 0x37c3f68c
	s_mov_b32 s1, 0x3fdc38aa
	v_add_f64 v[34:35], v[34:35], v[36:37]
	v_add_f64 v[26:27], v[26:27], v[36:37]
	;; [unrolled: 1-line block ×3, first 2 shown]
	v_fma_f64 v[36:37], v[30:31], s[0:1], v[38:39]
	v_fma_f64 v[24:25], v[30:31], s[0:1], v[24:25]
	;; [unrolled: 1-line block ×3, first 2 shown]
	s_movk_i32 s0, 0x2d8
	v_add_f64 v[32:33], v[34:35], -v[36:37]
	v_add_f64 v[38:39], v[22:23], -v[24:25]
	v_add_f64 v[40:41], v[30:31], v[26:27]
	v_add_f64 v[26:27], v[26:27], -v[30:31]
	v_add_f64 v[22:23], v[24:25], v[22:23]
	v_add_f64 v[24:25], v[36:37], v[34:35]
	v_mov_b32_e32 v31, 3
	v_mad_u32_u24 v30, v82, s0, 0
	v_lshlrev_b32_sdwa v31, v31, v83 dst_sel:DWORD dst_unused:UNUSED_PAD src0_sel:DWORD src1_sel:BYTE_0
	v_add3_u32 v30, v30, v31, v154
	ds_write2_b64 v30, v[28:29], v[32:33] offset1:13
	ds_write2_b64 v30, v[38:39], v[40:41] offset0:26 offset1:39
	ds_write2_b64 v30, v[26:27], v[22:23] offset0:52 offset1:65
	ds_write_b64 v30, v[24:25] offset:624
.LBB0_25:
	s_or_b64 exec, exec, s[2:3]
	s_waitcnt lgkmcnt(0)
	s_barrier
	s_and_saveexec_b64 s[0:1], vcc
	s_cbranch_execz .LBB0_27
; %bb.26:
	v_mul_u32_u24_e32 v22, 10, v153
	v_lshlrev_b32_e32 v22, 4, v22
	global_load_dwordx4 v[24:27], v22, s[8:9] offset:1312
	global_load_dwordx4 v[28:31], v22, s[8:9] offset:1328
	;; [unrolled: 1-line block ×10, first 2 shown]
	v_add_u32_e32 v32, 0xc00, v156
	v_add_u32_e32 v40, 0x800, v156
	v_add_u32_e32 v41, 0x1000, v156
	ds_read2_b64 v[74:77], v156 offset0:91 offset1:182
	v_add_u32_e32 v66, 0x1800, v156
	ds_read_b64 v[22:23], v155
	ds_read2_b64 v[32:35], v32 offset0:71 offset1:162
	ds_read2_b64 v[78:81], v40 offset0:17 offset1:108
	;; [unrolled: 1-line block ×4, first 2 shown]
	s_mov_b32 s8, 0x9bcd5057
	s_mov_b32 s26, 0xfd768dbf
	;; [unrolled: 1-line block ×30, first 2 shown]
	s_waitcnt vmcnt(9)
	v_mul_f64 v[40:41], v[16:17], v[26:27]
	s_waitcnt vmcnt(8)
	v_mul_f64 v[66:67], v[18:19], v[30:31]
	s_waitcnt lgkmcnt(3)
	v_mul_f64 v[26:27], v[32:33], v[26:27]
	v_mul_f64 v[30:31], v[34:35], v[30:31]
	s_waitcnt vmcnt(6)
	v_mul_f64 v[92:93], v[12:13], v[44:45]
	s_waitcnt lgkmcnt(1)
	v_mul_f64 v[44:45], v[82:83], v[44:45]
	;; [unrolled: 5-line block ×3, first 2 shown]
	s_waitcnt vmcnt(1)
	v_mul_f64 v[104:105], v[0:1], v[64:65]
	s_waitcnt vmcnt(0)
	v_mul_f64 v[106:107], v[10:11], v[72:73]
	v_mul_f64 v[94:95], v[80:81], v[38:39]
	v_mul_f64 v[98:99], v[14:15], v[52:53]
	v_mul_f64 v[52:53], v[84:85], v[52:53]
	v_mul_f64 v[100:101], v[2:3], v[56:57]
	v_mul_f64 v[64:65], v[74:75], v[64:65]
	v_mul_f64 v[72:73], v[88:89], v[72:73]
	v_fma_f64 v[40:41], v[32:33], v[24:25], v[40:41]
	v_fma_f64 v[34:35], v[34:35], v[28:29], v[66:67]
	v_fma_f64 v[38:39], v[16:17], v[24:25], -v[26:27]
	v_fma_f64 v[32:33], v[18:19], v[28:29], -v[30:31]
	;; [unrolled: 1-line block ×3, first 2 shown]
	v_fma_f64 v[18:19], v[86:87], v[58:59], v[102:103]
	v_fma_f64 v[16:17], v[8:9], v[58:59], -v[60:61]
	v_fma_f64 v[58:59], v[74:75], v[62:63], v[104:105]
	v_fma_f64 v[12:13], v[88:89], v[70:71], v[106:107]
	v_mul_f64 v[96:97], v[4:5], v[48:49]
	v_mul_f64 v[56:57], v[76:77], v[56:57]
	v_fma_f64 v[24:25], v[14:15], v[50:51], -v[52:53]
	v_fma_f64 v[76:77], v[76:77], v[54:55], v[100:101]
	v_fma_f64 v[60:61], v[0:1], v[62:63], -v[64:65]
	v_fma_f64 v[14:15], v[10:11], v[70:71], -v[72:73]
	v_mul_f64 v[48:49], v[78:79], v[48:49]
	v_add_f64 v[72:73], v[58:59], v[12:13]
	v_add_f64 v[88:89], v[58:59], -v[12:13]
	v_fma_f64 v[30:31], v[82:83], v[42:43], v[92:93]
	v_fma_f64 v[78:79], v[78:79], v[46:47], v[96:97]
	v_fma_f64 v[26:27], v[84:85], v[50:51], v[98:99]
	v_fma_f64 v[84:85], v[2:3], v[54:55], -v[56:57]
	v_add_f64 v[86:87], v[76:77], v[18:19]
	v_add_f64 v[92:93], v[60:61], -v[14:15]
	v_add_f64 v[96:97], v[76:77], -v[18:19]
	v_mul_f64 v[0:1], v[72:73], s[8:9]
	v_add_f64 v[98:99], v[60:61], v[14:15]
	v_mul_f64 v[2:3], v[88:89], s[24:25]
	v_fma_f64 v[66:67], v[80:81], v[36:37], v[90:91]
	v_fma_f64 v[80:81], v[6:7], v[36:37], -v[94:95]
	v_fma_f64 v[82:83], v[4:5], v[46:47], -v[48:49]
	v_add_f64 v[70:71], v[78:79], v[26:27]
	v_add_f64 v[90:91], v[84:85], -v[16:17]
	v_add_f64 v[104:105], v[78:79], -v[26:27]
	v_mul_f64 v[4:5], v[86:87], s[10:11]
	v_add_f64 v[106:107], v[84:85], v[16:17]
	v_fma_f64 v[6:7], v[92:93], s[26:27], v[0:1]
	v_mul_f64 v[8:9], v[96:97], s[30:31]
	v_fma_f64 v[10:11], v[98:99], s[8:9], v[2:3]
	v_add_f64 v[64:65], v[66:67], v[30:31]
	v_add_f64 v[74:75], v[82:83], -v[24:25]
	v_add_f64 v[102:103], v[66:67], -v[30:31]
	v_add_f64 v[108:109], v[82:83], v[24:25]
	v_mul_f64 v[46:47], v[70:71], s[0:1]
	v_mul_f64 v[48:49], v[104:105], s[22:23]
	v_fma_f64 v[50:51], v[90:91], s[18:19], v[4:5]
	v_fma_f64 v[0:1], v[92:93], s[24:25], v[0:1]
	v_add_f64 v[6:7], v[22:23], v[6:7]
	v_fma_f64 v[52:53], v[106:107], s[10:11], v[8:9]
	v_add_f64 v[10:11], v[20:21], v[10:11]
	v_add_f64 v[62:63], v[40:41], v[34:35]
	v_add_f64 v[44:45], v[80:81], -v[28:29]
	v_add_f64 v[94:95], v[40:41], -v[34:35]
	v_add_f64 v[100:101], v[80:81], v[28:29]
	v_mul_f64 v[54:55], v[64:65], s[4:5]
	v_mul_f64 v[56:57], v[102:103], s[34:35]
	v_fma_f64 v[110:111], v[74:75], s[16:17], v[46:47]
	v_fma_f64 v[4:5], v[90:91], s[30:31], v[4:5]
	v_add_f64 v[0:1], v[22:23], v[0:1]
	v_add_f64 v[6:7], v[50:51], v[6:7]
	v_fma_f64 v[50:51], v[108:109], s[0:1], v[48:49]
	v_add_f64 v[10:11], v[52:53], v[10:11]
	v_add_f64 v[36:37], v[38:39], -v[32:33]
	v_add_f64 v[42:43], v[38:39], v[32:33]
	v_mul_f64 v[52:53], v[62:63], s[2:3]
	v_mul_f64 v[112:113], v[94:95], s[20:21]
	v_fma_f64 v[114:115], v[44:45], s[6:7], v[54:55]
	v_fma_f64 v[46:47], v[74:75], s[22:23], v[46:47]
	v_add_f64 v[0:1], v[4:5], v[0:1]
	v_add_f64 v[4:5], v[110:111], v[6:7]
	v_fma_f64 v[6:7], v[100:101], s[4:5], v[56:57]
	v_add_f64 v[10:11], v[50:51], v[10:11]
	v_fma_f64 v[50:51], v[36:37], s[28:29], v[52:53]
	v_fma_f64 v[110:111], v[42:43], s[2:3], v[112:113]
	;; [unrolled: 1-line block ×3, first 2 shown]
	v_fma_f64 v[2:3], v[98:99], s[8:9], -v[2:3]
	v_add_f64 v[0:1], v[46:47], v[0:1]
	v_add_f64 v[4:5], v[114:115], v[4:5]
	v_fma_f64 v[46:47], v[36:37], s[20:21], v[52:53]
	v_add_f64 v[6:7], v[6:7], v[10:11]
	v_mul_f64 v[10:11], v[72:73], s[0:1]
	v_fma_f64 v[8:9], v[106:107], s[10:11], -v[8:9]
	v_mul_f64 v[116:117], v[104:105], s[18:19]
	v_add_f64 v[52:53], v[20:21], v[2:3]
	v_add_f64 v[54:55], v[54:55], v[0:1]
	;; [unrolled: 1-line block ×3, first 2 shown]
	v_fma_f64 v[4:5], v[108:109], s[0:1], -v[48:49]
	v_add_f64 v[0:1], v[110:111], v[6:7]
	v_mul_f64 v[48:49], v[88:89], s[22:23]
	v_mul_f64 v[50:51], v[86:87], s[2:3]
	v_fma_f64 v[110:111], v[92:93], s[16:17], v[10:11]
	v_add_f64 v[8:9], v[8:9], v[52:53]
	v_add_f64 v[6:7], v[46:47], v[54:55]
	v_fma_f64 v[46:47], v[100:101], s[4:5], -v[56:57]
	v_mul_f64 v[52:53], v[70:71], s[10:11]
	v_mul_f64 v[54:55], v[96:97], s[28:29]
	v_fma_f64 v[56:57], v[98:99], s[0:1], v[48:49]
	v_fma_f64 v[114:115], v[90:91], s[20:21], v[50:51]
	v_add_f64 v[110:111], v[22:23], v[110:111]
	v_add_f64 v[4:5], v[4:5], v[8:9]
	v_fma_f64 v[8:9], v[42:43], s[2:3], -v[112:113]
	v_mul_f64 v[112:113], v[64:65], s[8:9]
	v_fma_f64 v[120:121], v[74:75], s[30:31], v[52:53]
	v_fma_f64 v[118:119], v[106:107], s[2:3], v[54:55]
	v_add_f64 v[56:57], v[20:21], v[56:57]
	v_fma_f64 v[122:123], v[108:109], s[10:11], v[116:117]
	v_add_f64 v[110:111], v[114:115], v[110:111]
	v_add_f64 v[4:5], v[46:47], v[4:5]
	v_mul_f64 v[46:47], v[102:103], s[24:25]
	v_mul_f64 v[114:115], v[62:63], s[4:5]
	v_fma_f64 v[10:11], v[92:93], s[22:23], v[10:11]
	v_fma_f64 v[50:51], v[90:91], s[28:29], v[50:51]
	v_add_f64 v[56:57], v[118:119], v[56:57]
	v_fma_f64 v[118:119], v[44:45], s[26:27], v[112:113]
	v_add_f64 v[110:111], v[120:121], v[110:111]
	v_mul_f64 v[120:121], v[94:95], s[34:35]
	v_fma_f64 v[124:125], v[100:101], s[8:9], v[46:47]
	v_fma_f64 v[48:49], v[98:99], s[0:1], -v[48:49]
	v_add_f64 v[10:11], v[22:23], v[10:11]
	v_fma_f64 v[52:53], v[74:75], s[18:19], v[52:53]
	v_add_f64 v[56:57], v[122:123], v[56:57]
	v_fma_f64 v[122:123], v[36:37], s[6:7], v[114:115]
	;; [unrolled: 2-line block ×3, first 2 shown]
	v_fma_f64 v[54:55], v[106:107], s[2:3], -v[54:55]
	v_add_f64 v[48:49], v[20:21], v[48:49]
	v_add_f64 v[50:51], v[50:51], v[10:11]
	;; [unrolled: 1-line block ×4, first 2 shown]
	v_fma_f64 v[46:47], v[100:101], s[8:9], -v[46:47]
	v_add_f64 v[10:11], v[122:123], v[110:111]
	v_fma_f64 v[110:111], v[44:45], s[24:25], v[112:113]
	v_fma_f64 v[112:113], v[108:109], s[10:11], -v[116:117]
	v_mul_f64 v[116:117], v[72:73], s[2:3]
	v_add_f64 v[48:49], v[54:55], v[48:49]
	v_add_f64 v[50:51], v[52:53], v[50:51]
	;; [unrolled: 1-line block ×3, first 2 shown]
	v_fma_f64 v[52:53], v[36:37], s[34:35], v[114:115]
	v_mul_f64 v[54:55], v[88:89], s[20:21]
	v_mul_f64 v[56:57], v[86:87], s[8:9]
	;; [unrolled: 1-line block ×3, first 2 shown]
	v_fma_f64 v[114:115], v[92:93], s[28:29], v[116:117]
	v_add_f64 v[48:49], v[112:113], v[48:49]
	v_add_f64 v[50:51], v[110:111], v[50:51]
	v_fma_f64 v[110:111], v[42:43], s[4:5], -v[120:121]
	v_mul_f64 v[112:113], v[96:97], s[26:27]
	v_fma_f64 v[118:119], v[98:99], s[2:3], v[54:55]
	v_mul_f64 v[120:121], v[70:71], s[4:5]
	v_fma_f64 v[122:123], v[90:91], s[24:25], v[56:57]
	v_add_f64 v[114:115], v[22:23], v[114:115]
	v_add_f64 v[46:47], v[46:47], v[48:49]
	;; [unrolled: 1-line block ×3, first 2 shown]
	v_mul_f64 v[50:51], v[104:105], s[34:35]
	v_fma_f64 v[52:53], v[106:107], s[8:9], v[112:113]
	v_add_f64 v[118:119], v[20:21], v[118:119]
	v_fma_f64 v[126:127], v[74:75], s[6:7], v[120:121]
	v_fma_f64 v[116:117], v[92:93], s[20:21], v[116:117]
	v_add_f64 v[114:115], v[122:123], v[114:115]
	v_add_f64 v[46:47], v[110:111], v[46:47]
	v_mul_f64 v[110:111], v[62:63], s[0:1]
	v_mul_f64 v[122:123], v[102:103], s[18:19]
	v_fma_f64 v[128:129], v[108:109], s[4:5], v[50:51]
	v_add_f64 v[52:53], v[52:53], v[118:119]
	v_fma_f64 v[118:119], v[44:45], s[30:31], v[124:125]
	v_fma_f64 v[54:55], v[98:99], s[2:3], -v[54:55]
	v_add_f64 v[114:115], v[126:127], v[114:115]
	v_mul_f64 v[126:127], v[94:95], s[22:23]
	v_fma_f64 v[130:131], v[36:37], s[16:17], v[110:111]
	v_fma_f64 v[132:133], v[100:101], s[10:11], v[122:123]
	v_fma_f64 v[56:57], v[90:91], s[26:27], v[56:57]
	v_add_f64 v[52:53], v[128:129], v[52:53]
	v_add_f64 v[116:117], v[22:23], v[116:117]
	v_mul_f64 v[128:129], v[72:73], s[4:5]
	v_add_f64 v[114:115], v[118:119], v[114:115]
	v_fma_f64 v[112:113], v[106:107], s[8:9], -v[112:113]
	v_add_f64 v[54:55], v[20:21], v[54:55]
	v_fma_f64 v[118:119], v[42:43], s[0:1], v[126:127]
	v_fma_f64 v[120:121], v[74:75], s[34:35], v[120:121]
	v_add_f64 v[132:133], v[132:133], v[52:53]
	v_add_f64 v[56:57], v[56:57], v[116:117]
	v_fma_f64 v[116:117], v[92:93], s[34:35], v[128:129]
	v_add_f64 v[52:53], v[130:131], v[114:115]
	v_mul_f64 v[114:115], v[86:87], s[0:1]
	v_fma_f64 v[130:131], v[108:109], s[4:5], -v[50:51]
	v_add_f64 v[54:55], v[112:113], v[54:55]
	v_fma_f64 v[112:113], v[44:45], s[18:19], v[124:125]
	v_add_f64 v[50:51], v[118:119], v[132:133]
	v_add_f64 v[56:57], v[120:121], v[56:57]
	v_mul_f64 v[118:119], v[70:71], s[8:9]
	v_add_f64 v[116:117], v[22:23], v[116:117]
	v_fma_f64 v[120:121], v[90:91], s[16:17], v[114:115]
	v_fma_f64 v[122:123], v[100:101], s[10:11], -v[122:123]
	v_add_f64 v[54:55], v[130:131], v[54:55]
	v_mul_f64 v[124:125], v[88:89], s[6:7]
	v_mul_f64 v[138:139], v[102:103], s[28:29]
	v_add_f64 v[56:57], v[112:113], v[56:57]
	v_mul_f64 v[112:113], v[64:65], s[2:3]
	v_fma_f64 v[130:131], v[74:75], s[24:25], v[118:119]
	v_add_f64 v[116:117], v[120:121], v[116:117]
	v_fma_f64 v[120:121], v[42:43], s[0:1], -v[126:127]
	v_add_f64 v[54:55], v[122:123], v[54:55]
	v_mul_f64 v[122:123], v[96:97], s[22:23]
	v_fma_f64 v[126:127], v[98:99], s[4:5], v[124:125]
	v_mul_f64 v[140:141], v[72:73], s[10:11]
	v_fma_f64 v[132:133], v[44:45], s[20:21], v[112:113]
	v_fma_f64 v[72:73], v[92:93], s[6:7], v[128:129]
	v_add_f64 v[116:117], v[130:131], v[116:117]
	v_mul_f64 v[130:131], v[104:105], s[26:27]
	v_add_f64 v[54:55], v[120:121], v[54:55]
	v_fma_f64 v[120:121], v[106:107], s[0:1], v[122:123]
	v_add_f64 v[126:127], v[20:21], v[126:127]
	v_fma_f64 v[124:125], v[98:99], s[4:5], -v[124:125]
	v_add_f64 v[58:59], v[22:23], v[58:59]
	v_add_f64 v[60:61], v[20:21], v[60:61]
	;; [unrolled: 1-line block ×3, first 2 shown]
	v_fma_f64 v[132:133], v[108:109], s[8:9], v[130:131]
	v_fma_f64 v[128:129], v[100:101], s[2:3], v[138:139]
	;; [unrolled: 1-line block ×3, first 2 shown]
	v_add_f64 v[120:121], v[120:121], v[126:127]
	v_mul_f64 v[86:87], v[86:87], s[4:5]
	v_fma_f64 v[142:143], v[92:93], s[30:31], v[140:141]
	v_add_f64 v[72:73], v[22:23], v[72:73]
	v_fma_f64 v[122:123], v[106:107], s[0:1], -v[122:123]
	v_add_f64 v[124:125], v[20:21], v[124:125]
	v_add_f64 v[58:59], v[76:77], v[58:59]
	;; [unrolled: 1-line block ×4, first 2 shown]
	v_fma_f64 v[118:119], v[74:75], s[26:27], v[118:119]
	v_mul_f64 v[70:71], v[70:71], s[2:3]
	v_fma_f64 v[132:133], v[90:91], s[34:35], v[86:87]
	v_add_f64 v[142:143], v[22:23], v[142:143]
	v_add_f64 v[72:73], v[114:115], v[72:73]
	;; [unrolled: 1-line block ×5, first 2 shown]
	v_fma_f64 v[120:121], v[108:109], s[8:9], -v[130:131]
	v_add_f64 v[82:83], v[82:83], v[84:85]
	v_fma_f64 v[110:111], v[36:37], s[22:23], v[110:111]
	v_mul_f64 v[134:135], v[94:95], s[30:31]
	v_fma_f64 v[112:113], v[44:45], s[28:29], v[112:113]
	v_mul_f64 v[124:125], v[64:65], s[0:1]
	v_fma_f64 v[64:65], v[74:75], s[28:29], v[70:71]
	v_add_f64 v[128:129], v[132:133], v[142:143]
	v_add_f64 v[72:73], v[118:119], v[72:73]
	v_fma_f64 v[118:119], v[100:101], s[2:3], -v[138:139]
	v_add_f64 v[120:121], v[120:121], v[122:123]
	v_mul_f64 v[88:89], v[88:89], s[18:19]
	v_add_f64 v[66:67], v[66:67], v[78:79]
	v_add_f64 v[80:81], v[80:81], v[82:83]
	;; [unrolled: 1-line block ×3, first 2 shown]
	v_mul_f64 v[110:111], v[62:63], s[10:11]
	v_mul_f64 v[122:123], v[62:63], s[8:9]
	v_fma_f64 v[62:63], v[44:45], s[16:17], v[124:125]
	v_add_f64 v[64:65], v[64:65], v[128:129]
	v_add_f64 v[72:73], v[112:113], v[72:73]
	v_fma_f64 v[76:77], v[42:43], s[10:11], -v[134:135]
	v_add_f64 v[112:113], v[118:119], v[120:121]
	v_mul_f64 v[78:79], v[96:97], s[6:7]
	v_fma_f64 v[84:85], v[98:99], s[10:11], v[88:89]
	v_fma_f64 v[92:93], v[92:93], s[18:19], v[140:141]
	v_fma_f64 v[88:89], v[98:99], s[10:11], -v[88:89]
	v_add_f64 v[40:41], v[40:41], v[66:67]
	v_add_f64 v[38:39], v[38:39], v[80:81]
	;; [unrolled: 1-line block ×4, first 2 shown]
	v_mul_f64 v[76:77], v[94:95], s[24:25]
	v_mul_f64 v[94:95], v[104:105], s[20:21]
	v_fma_f64 v[66:67], v[106:107], s[4:5], v[78:79]
	v_add_f64 v[84:85], v[20:21], v[84:85]
	v_fma_f64 v[80:81], v[90:91], s[6:7], v[86:87]
	v_add_f64 v[22:23], v[22:23], v[92:93]
	v_fma_f64 v[78:79], v[106:107], s[4:5], -v[78:79]
	v_add_f64 v[20:21], v[20:21], v[88:89]
	v_add_f64 v[34:35], v[34:35], v[40:41]
	v_add_f64 v[32:33], v[32:33], v[38:39]
	v_mul_f64 v[82:83], v[102:103], s[22:23]
	v_fma_f64 v[38:39], v[74:75], s[20:21], v[70:71]
	v_fma_f64 v[70:71], v[108:109], s[2:3], -v[94:95]
	v_add_f64 v[22:23], v[80:81], v[22:23]
	v_fma_f64 v[136:137], v[36:37], s[18:19], v[110:111]
	v_add_f64 v[20:21], v[78:79], v[20:21]
	v_add_f64 v[30:31], v[30:31], v[34:35]
	;; [unrolled: 1-line block ×3, first 2 shown]
	v_fma_f64 v[32:33], v[44:45], s[22:23], v[124:125]
	v_fma_f64 v[110:111], v[36:37], s[30:31], v[110:111]
	;; [unrolled: 1-line block ×3, first 2 shown]
	v_add_f64 v[22:23], v[38:39], v[22:23]
	v_fma_f64 v[38:39], v[100:101], s[0:1], -v[82:83]
	v_add_f64 v[20:21], v[70:71], v[20:21]
	v_add_f64 v[26:27], v[26:27], v[30:31]
	;; [unrolled: 1-line block ×3, first 2 shown]
	v_fma_f64 v[28:29], v[36:37], s[24:25], v[122:123]
	v_fma_f64 v[34:35], v[100:101], s[0:1], v[82:83]
	v_mad_u64_u32 v[36:37], s[0:1], s12, v152, 0
	v_add_f64 v[22:23], v[32:33], v[22:23]
	v_fma_f64 v[32:33], v[42:43], s[8:9], -v[76:77]
	v_add_f64 v[20:21], v[38:39], v[20:21]
	v_add_f64 v[26:27], v[18:19], v[26:27]
	;; [unrolled: 1-line block ×3, first 2 shown]
	v_mov_b32_e32 v16, v37
	v_add_f64 v[64:65], v[110:111], v[72:73]
	v_fma_f64 v[40:41], v[108:109], s[2:3], v[94:95]
	v_add_f64 v[18:19], v[28:29], v[22:23]
	v_mad_u64_u32 v[28:29], s[0:1], s13, v152, v[16:17]
	v_add_f64 v[16:17], v[32:33], v[20:21]
	v_add_f64 v[22:23], v[12:13], v[26:27]
	v_lshlrev_b64 v[12:13], 4, v[68:69]
	v_add_f64 v[20:21], v[14:15], v[24:25]
	v_mov_b32_e32 v14, s15
	v_add_co_u32_e32 v27, vcc, s14, v12
	v_add_u32_e32 v24, 0x5b, v152
	v_mov_b32_e32 v37, v28
	v_addc_co_u32_e32 v28, vcc, v14, v13, vcc
	v_mad_u64_u32 v[14:15], s[0:1], s12, v24, 0
	v_add_u32_e32 v29, 0xb6, v152
	v_lshlrev_b64 v[12:13], 4, v[36:37]
	v_mad_u64_u32 v[24:25], s[0:1], s13, v24, v[15:16]
	v_mad_u64_u32 v[25:26], s[0:1], s12, v29, 0
	v_add_co_u32_e32 v12, vcc, v27, v12
	v_addc_co_u32_e32 v13, vcc, v28, v13, vcc
	v_mov_b32_e32 v15, v24
	global_store_dwordx4 v[12:13], v[20:23], off
	v_lshlrev_b64 v[12:13], 4, v[14:15]
	v_mov_b32_e32 v14, v26
	v_mad_u64_u32 v[14:15], s[0:1], s13, v29, v[14:15]
	v_add_co_u32_e32 v12, vcc, v27, v12
	v_addc_co_u32_e32 v13, vcc, v28, v13, vcc
	global_store_dwordx4 v[12:13], v[16:19], off
	v_mov_b32_e32 v26, v14
	v_add_u32_e32 v16, 0x111, v152
	v_mad_u64_u32 v[14:15], s[0:1], s12, v16, 0
	v_add_u32_e32 v18, 0x16c, v152
	v_lshlrev_b64 v[12:13], 4, v[25:26]
	v_mad_u64_u32 v[15:16], s[0:1], s13, v16, v[15:16]
	v_mad_u64_u32 v[16:17], s[0:1], s12, v18, 0
	v_add_co_u32_e32 v12, vcc, v27, v12
	v_addc_co_u32_e32 v13, vcc, v28, v13, vcc
	global_store_dwordx4 v[12:13], v[62:65], off
	v_lshlrev_b64 v[12:13], 4, v[14:15]
	v_mov_b32_e32 v14, v17
	v_mad_u64_u32 v[14:15], s[0:1], s13, v18, v[14:15]
	v_add_co_u32_e32 v12, vcc, v27, v12
	v_addc_co_u32_e32 v13, vcc, v28, v13, vcc
	v_mov_b32_e32 v17, v14
	global_store_dwordx4 v[12:13], v[54:57], off
	v_lshlrev_b64 v[12:13], 4, v[16:17]
	v_add_u32_e32 v16, 0x1c7, v152
	v_mad_u64_u32 v[14:15], s[0:1], s12, v16, 0
	v_add_co_u32_e32 v12, vcc, v27, v12
	v_mad_u64_u32 v[15:16], s[0:1], s13, v16, v[15:16]
	v_addc_co_u32_e32 v13, vcc, v28, v13, vcc
	v_add_u32_e32 v18, 0x222, v152
	v_mad_u64_u32 v[16:17], s[0:1], s12, v18, 0
	global_store_dwordx4 v[12:13], v[46:49], off
	v_lshlrev_b64 v[12:13], 4, v[14:15]
	v_mov_b32_e32 v14, v17
	v_add_co_u32_e32 v12, vcc, v27, v12
	v_addc_co_u32_e32 v13, vcc, v28, v13, vcc
	global_store_dwordx4 v[12:13], v[4:7], off
	v_add_u32_e32 v12, 0x27d, v152
	v_mad_u64_u32 v[14:15], s[0:1], s13, v18, v[14:15]
	v_mad_u64_u32 v[6:7], s[0:1], s12, v12, 0
	v_add_f64 v[66:67], v[66:67], v[84:85]
	v_mov_b32_e32 v17, v14
	v_mad_u64_u32 v[12:13], s[0:1], s13, v12, v[7:8]
	v_add_u32_e32 v15, 0x2d8, v152
	v_lshlrev_b64 v[4:5], 4, v[16:17]
	v_mad_u64_u32 v[13:14], s[0:1], s12, v15, 0
	v_add_co_u32_e32 v4, vcc, v27, v4
	v_addc_co_u32_e32 v5, vcc, v28, v5, vcc
	v_add_f64 v[40:41], v[40:41], v[66:67]
	global_store_dwordx4 v[4:5], v[0:3], off
	v_fma_f64 v[126:127], v[42:43], s[10:11], v[134:135]
	v_mov_b32_e32 v2, v14
	v_mad_u64_u32 v[2:3], s[0:1], s13, v15, v[2:3]
	v_add_u32_e32 v4, 0x333, v152
	v_mov_b32_e32 v7, v12
	v_mov_b32_e32 v14, v2
	v_mad_u64_u32 v[2:3], s[0:1], s12, v4, 0
	v_lshlrev_b64 v[0:1], 4, v[6:7]
	v_fma_f64 v[30:31], v[42:43], s[8:9], v[76:77]
	v_add_f64 v[34:35], v[34:35], v[40:41]
	v_add_co_u32_e32 v0, vcc, v27, v0
	v_addc_co_u32_e32 v1, vcc, v28, v1, vcc
	v_mad_u64_u32 v[3:4], s[0:1], s13, v4, v[3:4]
	v_add_u32_e32 v6, 0x38e, v152
	global_store_dwordx4 v[0:1], v[8:11], off
	v_lshlrev_b64 v[0:1], 4, v[13:14]
	v_mad_u64_u32 v[4:5], s[0:1], s12, v6, 0
	v_add_f64 v[60:61], v[136:137], v[116:117]
	v_add_f64 v[58:59], v[126:127], v[114:115]
	v_add_co_u32_e32 v0, vcc, v27, v0
	v_addc_co_u32_e32 v1, vcc, v28, v1, vcc
	global_store_dwordx4 v[0:1], v[50:53], off
	v_lshlrev_b64 v[0:1], 4, v[2:3]
	v_mov_b32_e32 v2, v5
	v_mad_u64_u32 v[2:3], s[0:1], s13, v6, v[2:3]
	v_add_f64 v[72:73], v[118:119], v[120:121]
	v_add_f64 v[70:71], v[30:31], v[34:35]
	v_add_co_u32_e32 v0, vcc, v27, v0
	v_addc_co_u32_e32 v1, vcc, v28, v1, vcc
	v_mov_b32_e32 v5, v2
	global_store_dwordx4 v[0:1], v[58:61], off
	v_lshlrev_b64 v[0:1], 4, v[4:5]
	v_add_co_u32_e32 v0, vcc, v27, v0
	v_addc_co_u32_e32 v1, vcc, v28, v1, vcc
	global_store_dwordx4 v[0:1], v[70:73], off
.LBB0_27:
	s_endpgm
	.section	.rodata,"a",@progbits
	.p2align	6, 0x0
	.amdhsa_kernel fft_rtc_fwd_len1001_factors_13_7_11_wgs_182_tpt_91_halfLds_dp_ip_CI_sbrr_dirReg
		.amdhsa_group_segment_fixed_size 0
		.amdhsa_private_segment_fixed_size 0
		.amdhsa_kernarg_size 88
		.amdhsa_user_sgpr_count 6
		.amdhsa_user_sgpr_private_segment_buffer 1
		.amdhsa_user_sgpr_dispatch_ptr 0
		.amdhsa_user_sgpr_queue_ptr 0
		.amdhsa_user_sgpr_kernarg_segment_ptr 1
		.amdhsa_user_sgpr_dispatch_id 0
		.amdhsa_user_sgpr_flat_scratch_init 0
		.amdhsa_user_sgpr_private_segment_size 0
		.amdhsa_uses_dynamic_stack 0
		.amdhsa_system_sgpr_private_segment_wavefront_offset 0
		.amdhsa_system_sgpr_workgroup_id_x 1
		.amdhsa_system_sgpr_workgroup_id_y 0
		.amdhsa_system_sgpr_workgroup_id_z 0
		.amdhsa_system_sgpr_workgroup_info 0
		.amdhsa_system_vgpr_workitem_id 0
		.amdhsa_next_free_vgpr 202
		.amdhsa_next_free_sgpr 44
		.amdhsa_reserve_vcc 1
		.amdhsa_reserve_flat_scratch 0
		.amdhsa_float_round_mode_32 0
		.amdhsa_float_round_mode_16_64 0
		.amdhsa_float_denorm_mode_32 3
		.amdhsa_float_denorm_mode_16_64 3
		.amdhsa_dx10_clamp 1
		.amdhsa_ieee_mode 1
		.amdhsa_fp16_overflow 0
		.amdhsa_exception_fp_ieee_invalid_op 0
		.amdhsa_exception_fp_denorm_src 0
		.amdhsa_exception_fp_ieee_div_zero 0
		.amdhsa_exception_fp_ieee_overflow 0
		.amdhsa_exception_fp_ieee_underflow 0
		.amdhsa_exception_fp_ieee_inexact 0
		.amdhsa_exception_int_div_zero 0
	.end_amdhsa_kernel
	.text
.Lfunc_end0:
	.size	fft_rtc_fwd_len1001_factors_13_7_11_wgs_182_tpt_91_halfLds_dp_ip_CI_sbrr_dirReg, .Lfunc_end0-fft_rtc_fwd_len1001_factors_13_7_11_wgs_182_tpt_91_halfLds_dp_ip_CI_sbrr_dirReg
                                        ; -- End function
	.section	.AMDGPU.csdata,"",@progbits
; Kernel info:
; codeLenInByte = 13068
; NumSgprs: 48
; NumVgprs: 202
; ScratchSize: 0
; MemoryBound: 1
; FloatMode: 240
; IeeeMode: 1
; LDSByteSize: 0 bytes/workgroup (compile time only)
; SGPRBlocks: 5
; VGPRBlocks: 50
; NumSGPRsForWavesPerEU: 48
; NumVGPRsForWavesPerEU: 202
; Occupancy: 1
; WaveLimiterHint : 1
; COMPUTE_PGM_RSRC2:SCRATCH_EN: 0
; COMPUTE_PGM_RSRC2:USER_SGPR: 6
; COMPUTE_PGM_RSRC2:TRAP_HANDLER: 0
; COMPUTE_PGM_RSRC2:TGID_X_EN: 1
; COMPUTE_PGM_RSRC2:TGID_Y_EN: 0
; COMPUTE_PGM_RSRC2:TGID_Z_EN: 0
; COMPUTE_PGM_RSRC2:TIDIG_COMP_CNT: 0
	.type	__hip_cuid_246cd3fcfa10dd53,@object ; @__hip_cuid_246cd3fcfa10dd53
	.section	.bss,"aw",@nobits
	.globl	__hip_cuid_246cd3fcfa10dd53
__hip_cuid_246cd3fcfa10dd53:
	.byte	0                               ; 0x0
	.size	__hip_cuid_246cd3fcfa10dd53, 1

	.ident	"AMD clang version 19.0.0git (https://github.com/RadeonOpenCompute/llvm-project roc-6.4.0 25133 c7fe45cf4b819c5991fe208aaa96edf142730f1d)"
	.section	".note.GNU-stack","",@progbits
	.addrsig
	.addrsig_sym __hip_cuid_246cd3fcfa10dd53
	.amdgpu_metadata
---
amdhsa.kernels:
  - .args:
      - .actual_access:  read_only
        .address_space:  global
        .offset:         0
        .size:           8
        .value_kind:     global_buffer
      - .offset:         8
        .size:           8
        .value_kind:     by_value
      - .actual_access:  read_only
        .address_space:  global
        .offset:         16
        .size:           8
        .value_kind:     global_buffer
      - .actual_access:  read_only
        .address_space:  global
        .offset:         24
        .size:           8
        .value_kind:     global_buffer
      - .offset:         32
        .size:           8
        .value_kind:     by_value
      - .actual_access:  read_only
        .address_space:  global
        .offset:         40
        .size:           8
        .value_kind:     global_buffer
      - .actual_access:  read_only
        .address_space:  global
        .offset:         48
        .size:           8
        .value_kind:     global_buffer
      - .offset:         56
        .size:           4
        .value_kind:     by_value
      - .actual_access:  read_only
        .address_space:  global
        .offset:         64
        .size:           8
        .value_kind:     global_buffer
      - .actual_access:  read_only
        .address_space:  global
        .offset:         72
        .size:           8
        .value_kind:     global_buffer
      - .address_space:  global
        .offset:         80
        .size:           8
        .value_kind:     global_buffer
    .group_segment_fixed_size: 0
    .kernarg_segment_align: 8
    .kernarg_segment_size: 88
    .language:       OpenCL C
    .language_version:
      - 2
      - 0
    .max_flat_workgroup_size: 182
    .name:           fft_rtc_fwd_len1001_factors_13_7_11_wgs_182_tpt_91_halfLds_dp_ip_CI_sbrr_dirReg
    .private_segment_fixed_size: 0
    .sgpr_count:     48
    .sgpr_spill_count: 0
    .symbol:         fft_rtc_fwd_len1001_factors_13_7_11_wgs_182_tpt_91_halfLds_dp_ip_CI_sbrr_dirReg.kd
    .uniform_work_group_size: 1
    .uses_dynamic_stack: false
    .vgpr_count:     202
    .vgpr_spill_count: 0
    .wavefront_size: 64
amdhsa.target:   amdgcn-amd-amdhsa--gfx906
amdhsa.version:
  - 1
  - 2
...

	.end_amdgpu_metadata
